;; amdgpu-corpus repo=ROCm/rocFFT kind=compiled arch=gfx1030 opt=O3
	.text
	.amdgcn_target "amdgcn-amd-amdhsa--gfx1030"
	.amdhsa_code_object_version 6
	.protected	fft_rtc_back_len1666_factors_17_2_7_7_wgs_119_tpt_119_halfLds_dp_op_CI_CI_unitstride_sbrr_C2R_dirReg ; -- Begin function fft_rtc_back_len1666_factors_17_2_7_7_wgs_119_tpt_119_halfLds_dp_op_CI_CI_unitstride_sbrr_C2R_dirReg
	.globl	fft_rtc_back_len1666_factors_17_2_7_7_wgs_119_tpt_119_halfLds_dp_op_CI_CI_unitstride_sbrr_C2R_dirReg
	.p2align	8
	.type	fft_rtc_back_len1666_factors_17_2_7_7_wgs_119_tpt_119_halfLds_dp_op_CI_CI_unitstride_sbrr_C2R_dirReg,@function
fft_rtc_back_len1666_factors_17_2_7_7_wgs_119_tpt_119_halfLds_dp_op_CI_CI_unitstride_sbrr_C2R_dirReg: ; @fft_rtc_back_len1666_factors_17_2_7_7_wgs_119_tpt_119_halfLds_dp_op_CI_CI_unitstride_sbrr_C2R_dirReg
; %bb.0:
	s_clause 0x2
	s_load_dwordx4 s[12:15], s[4:5], 0x0
	s_load_dwordx4 s[8:11], s[4:5], 0x58
	;; [unrolled: 1-line block ×3, first 2 shown]
	v_mul_u32_u24_e32 v1, 0x227, v0
	v_mov_b32_e32 v3, 0
	v_add_nc_u32_sdwa v5, s6, v1 dst_sel:DWORD dst_unused:UNUSED_PAD src0_sel:DWORD src1_sel:WORD_1
	v_mov_b32_e32 v1, 0
	v_mov_b32_e32 v6, v3
	v_mov_b32_e32 v2, 0
	s_waitcnt lgkmcnt(0)
	v_cmp_lt_u64_e64 s0, s[14:15], 2
	s_and_b32 vcc_lo, exec_lo, s0
	s_cbranch_vccnz .LBB0_8
; %bb.1:
	s_load_dwordx2 s[0:1], s[4:5], 0x10
	v_mov_b32_e32 v1, 0
	v_mov_b32_e32 v2, 0
	s_add_u32 s2, s18, 8
	s_addc_u32 s3, s19, 0
	s_add_u32 s6, s16, 8
	s_addc_u32 s7, s17, 0
	v_mov_b32_e32 v69, v2
	v_mov_b32_e32 v68, v1
	s_mov_b64 s[22:23], 1
	s_waitcnt lgkmcnt(0)
	s_add_u32 s20, s0, 8
	s_addc_u32 s21, s1, 0
.LBB0_2:                                ; =>This Inner Loop Header: Depth=1
	s_load_dwordx2 s[24:25], s[20:21], 0x0
                                        ; implicit-def: $vgpr72_vgpr73
	s_mov_b32 s0, exec_lo
	s_waitcnt lgkmcnt(0)
	v_or_b32_e32 v4, s25, v6
	v_cmpx_ne_u64_e32 0, v[3:4]
	s_xor_b32 s1, exec_lo, s0
	s_cbranch_execz .LBB0_4
; %bb.3:                                ;   in Loop: Header=BB0_2 Depth=1
	v_cvt_f32_u32_e32 v4, s24
	v_cvt_f32_u32_e32 v7, s25
	s_sub_u32 s0, 0, s24
	s_subb_u32 s26, 0, s25
	v_fmac_f32_e32 v4, 0x4f800000, v7
	v_rcp_f32_e32 v4, v4
	v_mul_f32_e32 v4, 0x5f7ffffc, v4
	v_mul_f32_e32 v7, 0x2f800000, v4
	v_trunc_f32_e32 v7, v7
	v_fmac_f32_e32 v4, 0xcf800000, v7
	v_cvt_u32_f32_e32 v7, v7
	v_cvt_u32_f32_e32 v4, v4
	v_mul_lo_u32 v8, s0, v7
	v_mul_hi_u32 v9, s0, v4
	v_mul_lo_u32 v10, s26, v4
	v_add_nc_u32_e32 v8, v9, v8
	v_mul_lo_u32 v9, s0, v4
	v_add_nc_u32_e32 v8, v8, v10
	v_mul_hi_u32 v10, v4, v9
	v_mul_lo_u32 v11, v4, v8
	v_mul_hi_u32 v12, v4, v8
	v_mul_hi_u32 v13, v7, v9
	v_mul_lo_u32 v9, v7, v9
	v_mul_hi_u32 v14, v7, v8
	v_mul_lo_u32 v8, v7, v8
	v_add_co_u32 v10, vcc_lo, v10, v11
	v_add_co_ci_u32_e32 v11, vcc_lo, 0, v12, vcc_lo
	v_add_co_u32 v9, vcc_lo, v10, v9
	v_add_co_ci_u32_e32 v9, vcc_lo, v11, v13, vcc_lo
	v_add_co_ci_u32_e32 v10, vcc_lo, 0, v14, vcc_lo
	v_add_co_u32 v8, vcc_lo, v9, v8
	v_add_co_ci_u32_e32 v9, vcc_lo, 0, v10, vcc_lo
	v_add_co_u32 v4, vcc_lo, v4, v8
	v_add_co_ci_u32_e32 v7, vcc_lo, v7, v9, vcc_lo
	v_mul_hi_u32 v8, s0, v4
	v_mul_lo_u32 v10, s26, v4
	v_mul_lo_u32 v9, s0, v7
	v_add_nc_u32_e32 v8, v8, v9
	v_mul_lo_u32 v9, s0, v4
	v_add_nc_u32_e32 v8, v8, v10
	v_mul_hi_u32 v10, v4, v9
	v_mul_lo_u32 v11, v4, v8
	v_mul_hi_u32 v12, v4, v8
	v_mul_hi_u32 v13, v7, v9
	v_mul_lo_u32 v9, v7, v9
	v_mul_hi_u32 v14, v7, v8
	v_mul_lo_u32 v8, v7, v8
	v_add_co_u32 v10, vcc_lo, v10, v11
	v_add_co_ci_u32_e32 v11, vcc_lo, 0, v12, vcc_lo
	v_add_co_u32 v9, vcc_lo, v10, v9
	v_add_co_ci_u32_e32 v9, vcc_lo, v11, v13, vcc_lo
	v_add_co_ci_u32_e32 v10, vcc_lo, 0, v14, vcc_lo
	v_add_co_u32 v8, vcc_lo, v9, v8
	v_add_co_ci_u32_e32 v9, vcc_lo, 0, v10, vcc_lo
	v_add_co_u32 v4, vcc_lo, v4, v8
	v_add_co_ci_u32_e32 v11, vcc_lo, v7, v9, vcc_lo
	v_mul_hi_u32 v13, v5, v4
	v_mad_u64_u32 v[9:10], null, v6, v4, 0
	v_mad_u64_u32 v[7:8], null, v5, v11, 0
	;; [unrolled: 1-line block ×3, first 2 shown]
	v_add_co_u32 v4, vcc_lo, v13, v7
	v_add_co_ci_u32_e32 v7, vcc_lo, 0, v8, vcc_lo
	v_add_co_u32 v4, vcc_lo, v4, v9
	v_add_co_ci_u32_e32 v4, vcc_lo, v7, v10, vcc_lo
	v_add_co_ci_u32_e32 v7, vcc_lo, 0, v12, vcc_lo
	v_add_co_u32 v4, vcc_lo, v4, v11
	v_add_co_ci_u32_e32 v9, vcc_lo, 0, v7, vcc_lo
	v_mul_lo_u32 v10, s25, v4
	v_mad_u64_u32 v[7:8], null, s24, v4, 0
	v_mul_lo_u32 v11, s24, v9
	v_sub_co_u32 v7, vcc_lo, v5, v7
	v_add3_u32 v8, v8, v11, v10
	v_sub_nc_u32_e32 v10, v6, v8
	v_subrev_co_ci_u32_e64 v10, s0, s25, v10, vcc_lo
	v_add_co_u32 v11, s0, v4, 2
	v_add_co_ci_u32_e64 v12, s0, 0, v9, s0
	v_sub_co_u32 v13, s0, v7, s24
	v_sub_co_ci_u32_e32 v8, vcc_lo, v6, v8, vcc_lo
	v_subrev_co_ci_u32_e64 v10, s0, 0, v10, s0
	v_cmp_le_u32_e32 vcc_lo, s24, v13
	v_cmp_eq_u32_e64 s0, s25, v8
	v_cndmask_b32_e64 v13, 0, -1, vcc_lo
	v_cmp_le_u32_e32 vcc_lo, s25, v10
	v_cndmask_b32_e64 v14, 0, -1, vcc_lo
	v_cmp_le_u32_e32 vcc_lo, s24, v7
	;; [unrolled: 2-line block ×3, first 2 shown]
	v_cndmask_b32_e64 v15, 0, -1, vcc_lo
	v_cmp_eq_u32_e32 vcc_lo, s25, v10
	v_cndmask_b32_e64 v7, v15, v7, s0
	v_cndmask_b32_e32 v10, v14, v13, vcc_lo
	v_add_co_u32 v13, vcc_lo, v4, 1
	v_add_co_ci_u32_e32 v14, vcc_lo, 0, v9, vcc_lo
	v_cmp_ne_u32_e32 vcc_lo, 0, v10
	v_cndmask_b32_e32 v8, v14, v12, vcc_lo
	v_cndmask_b32_e32 v10, v13, v11, vcc_lo
	v_cmp_ne_u32_e32 vcc_lo, 0, v7
	v_cndmask_b32_e32 v73, v9, v8, vcc_lo
	v_cndmask_b32_e32 v72, v4, v10, vcc_lo
.LBB0_4:                                ;   in Loop: Header=BB0_2 Depth=1
	s_andn2_saveexec_b32 s0, s1
	s_cbranch_execz .LBB0_6
; %bb.5:                                ;   in Loop: Header=BB0_2 Depth=1
	v_cvt_f32_u32_e32 v4, s24
	s_sub_i32 s1, 0, s24
	v_mov_b32_e32 v73, v3
	v_rcp_iflag_f32_e32 v4, v4
	v_mul_f32_e32 v4, 0x4f7ffffe, v4
	v_cvt_u32_f32_e32 v4, v4
	v_mul_lo_u32 v7, s1, v4
	v_mul_hi_u32 v7, v4, v7
	v_add_nc_u32_e32 v4, v4, v7
	v_mul_hi_u32 v4, v5, v4
	v_mul_lo_u32 v7, v4, s24
	v_add_nc_u32_e32 v8, 1, v4
	v_sub_nc_u32_e32 v7, v5, v7
	v_subrev_nc_u32_e32 v9, s24, v7
	v_cmp_le_u32_e32 vcc_lo, s24, v7
	v_cndmask_b32_e32 v7, v7, v9, vcc_lo
	v_cndmask_b32_e32 v4, v4, v8, vcc_lo
	v_cmp_le_u32_e32 vcc_lo, s24, v7
	v_add_nc_u32_e32 v8, 1, v4
	v_cndmask_b32_e32 v72, v4, v8, vcc_lo
.LBB0_6:                                ;   in Loop: Header=BB0_2 Depth=1
	s_or_b32 exec_lo, exec_lo, s0
	v_mul_lo_u32 v4, v73, s24
	v_mul_lo_u32 v9, v72, s25
	s_load_dwordx2 s[0:1], s[6:7], 0x0
	v_mad_u64_u32 v[7:8], null, v72, s24, 0
	s_load_dwordx2 s[24:25], s[2:3], 0x0
	s_add_u32 s22, s22, 1
	s_addc_u32 s23, s23, 0
	s_add_u32 s2, s2, 8
	s_addc_u32 s3, s3, 0
	s_add_u32 s6, s6, 8
	v_add3_u32 v4, v8, v9, v4
	v_sub_co_u32 v5, vcc_lo, v5, v7
	s_addc_u32 s7, s7, 0
	s_add_u32 s20, s20, 8
	v_sub_co_ci_u32_e32 v4, vcc_lo, v6, v4, vcc_lo
	s_addc_u32 s21, s21, 0
	s_waitcnt lgkmcnt(0)
	v_mul_lo_u32 v6, s0, v4
	v_mul_lo_u32 v7, s1, v5
	v_mad_u64_u32 v[1:2], null, s0, v5, v[1:2]
	v_mul_lo_u32 v4, s24, v4
	v_mul_lo_u32 v8, s25, v5
	v_mad_u64_u32 v[68:69], null, s24, v5, v[68:69]
	v_cmp_ge_u64_e64 s0, s[22:23], s[14:15]
	v_add3_u32 v2, v7, v2, v6
	v_add3_u32 v69, v8, v69, v4
	s_and_b32 vcc_lo, exec_lo, s0
	s_cbranch_vccnz .LBB0_9
; %bb.7:                                ;   in Loop: Header=BB0_2 Depth=1
	v_mov_b32_e32 v5, v72
	v_mov_b32_e32 v6, v73
	s_branch .LBB0_2
.LBB0_8:
	v_mov_b32_e32 v69, v2
	v_mov_b32_e32 v73, v6
	;; [unrolled: 1-line block ×4, first 2 shown]
.LBB0_9:
	s_load_dwordx2 s[0:1], s[4:5], 0x28
	v_mul_hi_u32 v3, 0x226b903, v0
	s_lshl_b64 s[4:5], s[14:15], 3
                                        ; implicit-def: $vgpr70
	s_add_u32 s2, s18, s4
	s_addc_u32 s3, s19, s5
	s_waitcnt lgkmcnt(0)
	v_cmp_gt_u64_e32 vcc_lo, s[0:1], v[72:73]
	v_cmp_le_u64_e64 s0, s[0:1], v[72:73]
	s_and_saveexec_b32 s1, s0
	s_xor_b32 s0, exec_lo, s1
; %bb.10:
	v_mul_u32_u24_e32 v1, 0x77, v3
                                        ; implicit-def: $vgpr3
	v_sub_nc_u32_e32 v70, v0, v1
                                        ; implicit-def: $vgpr0
                                        ; implicit-def: $vgpr1_vgpr2
; %bb.11:
	s_or_saveexec_b32 s1, s0
	s_load_dwordx2 s[2:3], s[2:3], 0x0
	s_xor_b32 exec_lo, exec_lo, s1
	s_cbranch_execz .LBB0_15
; %bb.12:
	s_add_u32 s4, s16, s4
	s_addc_u32 s5, s17, s5
	v_lshlrev_b64 v[1:2], 4, v[1:2]
	s_load_dwordx2 s[4:5], s[4:5], 0x0
	s_waitcnt lgkmcnt(0)
	v_mul_lo_u32 v6, s5, v72
	v_mul_lo_u32 v7, s4, v73
	v_mad_u64_u32 v[4:5], null, s4, v72, 0
	s_mov_b32 s4, exec_lo
	v_add3_u32 v5, v5, v7, v6
	v_mul_u32_u24_e32 v6, 0x77, v3
	v_lshlrev_b64 v[3:4], 4, v[4:5]
	v_sub_nc_u32_e32 v70, v0, v6
	v_lshlrev_b32_e32 v58, 4, v70
	v_add_co_u32 v0, s0, s8, v3
	v_add_co_ci_u32_e64 v3, s0, s9, v4, s0
	v_add_co_u32 v0, s0, v0, v1
	v_add_co_ci_u32_e64 v1, s0, v3, v2, s0
	;; [unrolled: 2-line block ×3, first 2 shown]
	s_clause 0x1
	global_load_dwordx4 v[2:5], v[10:11], off
	global_load_dwordx4 v[6:9], v[10:11], off offset:1904
	v_add_co_u32 v12, s0, 0x800, v10
	v_add_co_ci_u32_e64 v13, s0, 0, v11, s0
	v_add_co_u32 v14, s0, 0x1000, v10
	v_add_co_ci_u32_e64 v15, s0, 0, v11, s0
	;; [unrolled: 2-line block ×12, first 2 shown]
	s_clause 0xb
	global_load_dwordx4 v[10:13], v[12:13], off offset:1760
	global_load_dwordx4 v[14:17], v[14:15], off offset:1616
	;; [unrolled: 1-line block ×12, first 2 shown]
	v_add_nc_u32_e32 v58, 0, v58
	s_waitcnt vmcnt(13)
	ds_write_b128 v58, v[2:5]
	s_waitcnt vmcnt(12)
	ds_write_b128 v58, v[6:9] offset:1904
	s_waitcnt vmcnt(11)
	ds_write_b128 v58, v[10:13] offset:3808
	s_waitcnt vmcnt(10)
	ds_write_b128 v58, v[14:17] offset:5712
	s_waitcnt vmcnt(9)
	ds_write_b128 v58, v[18:21] offset:7616
	s_waitcnt vmcnt(8)
	ds_write_b128 v58, v[22:25] offset:9520
	s_waitcnt vmcnt(7)
	ds_write_b128 v58, v[26:29] offset:11424
	s_waitcnt vmcnt(6)
	ds_write_b128 v58, v[30:33] offset:13328
	s_waitcnt vmcnt(5)
	ds_write_b128 v58, v[34:37] offset:15232
	s_waitcnt vmcnt(4)
	ds_write_b128 v58, v[38:41] offset:17136
	s_waitcnt vmcnt(3)
	ds_write_b128 v58, v[42:45] offset:19040
	s_waitcnt vmcnt(2)
	ds_write_b128 v58, v[46:49] offset:20944
	s_waitcnt vmcnt(1)
	ds_write_b128 v58, v[50:53] offset:22848
	s_waitcnt vmcnt(0)
	ds_write_b128 v58, v[54:57] offset:24752
	v_cmpx_eq_u32_e32 0x76, v70
	s_cbranch_execz .LBB0_14
; %bb.13:
	v_add_co_u32 v0, s0, 0x6800, v0
	v_add_co_ci_u32_e64 v1, s0, 0, v1, s0
	v_mov_b32_e32 v4, 0
	v_mov_b32_e32 v70, 0x76
	global_load_dwordx4 v[0:3], v[0:1], off offset:32
	s_waitcnt vmcnt(0)
	ds_write_b128 v4, v[0:3] offset:26656
.LBB0_14:
	s_or_b32 exec_lo, exec_lo, s4
.LBB0_15:
	s_or_b32 exec_lo, exec_lo, s1
	v_lshlrev_b32_e32 v0, 4, v70
	s_waitcnt lgkmcnt(0)
	s_barrier
	buffer_gl0_inv
	s_add_u32 s1, s12, 0x6710
	v_add_nc_u32_e32 v106, 0, v0
	v_sub_nc_u32_e32 v10, 0, v0
	s_addc_u32 s4, s13, 0
	s_mov_b32 s5, exec_lo
                                        ; implicit-def: $vgpr4_vgpr5
	ds_read_b64 v[6:7], v106
	ds_read_b64 v[8:9], v10 offset:26656
	s_waitcnt lgkmcnt(0)
	v_add_f64 v[0:1], v[6:7], v[8:9]
	v_add_f64 v[2:3], v[6:7], -v[8:9]
	v_cmpx_ne_u32_e32 0, v70
	s_xor_b32 s5, exec_lo, s5
	s_cbranch_execz .LBB0_17
; %bb.16:
	v_mov_b32_e32 v71, 0
	v_add_f64 v[13:14], v[6:7], v[8:9]
	v_add_f64 v[15:16], v[6:7], -v[8:9]
	v_lshlrev_b64 v[0:1], 4, v[70:71]
	v_add_co_u32 v0, s0, s1, v0
	v_add_co_ci_u32_e64 v1, s0, s4, v1, s0
	global_load_dwordx4 v[2:5], v[0:1], off
	ds_read_b64 v[0:1], v10 offset:26664
	ds_read_b64 v[11:12], v106 offset:8
	s_waitcnt lgkmcnt(0)
	v_add_f64 v[6:7], v[0:1], v[11:12]
	v_add_f64 v[0:1], v[11:12], -v[0:1]
	s_waitcnt vmcnt(0)
	v_fma_f64 v[8:9], v[15:16], v[4:5], v[13:14]
	v_fma_f64 v[11:12], -v[15:16], v[4:5], v[13:14]
	v_fma_f64 v[13:14], v[6:7], v[4:5], -v[0:1]
	v_fma_f64 v[4:5], v[6:7], v[4:5], v[0:1]
	v_fma_f64 v[0:1], -v[6:7], v[2:3], v[8:9]
	v_fma_f64 v[6:7], v[6:7], v[2:3], v[11:12]
	v_fma_f64 v[8:9], v[15:16], v[2:3], v[13:14]
	;; [unrolled: 1-line block ×3, first 2 shown]
	v_mov_b32_e32 v4, v70
	v_mov_b32_e32 v5, v71
	ds_write_b128 v10, v[6:9] offset:26656
.LBB0_17:
	s_andn2_saveexec_b32 s0, s5
	s_cbranch_execz .LBB0_19
; %bb.18:
	v_mov_b32_e32 v8, 0
	ds_read_b128 v[4:7], v8 offset:13328
	s_waitcnt lgkmcnt(0)
	v_add_f64 v[11:12], v[4:5], v[4:5]
	v_mul_f64 v[13:14], v[6:7], -2.0
	v_mov_b32_e32 v4, 0
	v_mov_b32_e32 v5, 0
	ds_write_b128 v8, v[11:14] offset:13328
.LBB0_19:
	s_or_b32 exec_lo, exec_lo, s0
	v_lshlrev_b64 v[4:5], 4, v[4:5]
	ds_write_b128 v106, v[0:3]
	s_mov_b32 s33, exec_lo
	v_add_co_u32 v27, s0, s1, v4
	v_add_co_ci_u32_e64 v28, s0, s4, v5, s0
	v_add_co_u32 v8, s0, 0x800, v27
	global_load_dwordx4 v[4:7], v[27:28], off offset:1904
	v_add_co_ci_u32_e64 v9, s0, 0, v28, s0
	global_load_dwordx4 v[11:14], v[8:9], off offset:1760
	v_add_co_u32 v8, s0, 0x1000, v27
	v_add_co_ci_u32_e64 v9, s0, 0, v28, s0
	global_load_dwordx4 v[15:18], v[8:9], off offset:1616
	v_add_co_u32 v8, s0, 0x1800, v27
	v_add_co_ci_u32_e64 v9, s0, 0, v28, s0
	ds_read_b128 v[0:3], v106 offset:1904
	ds_read_b128 v[19:22], v10 offset:24752
	global_load_dwordx4 v[23:26], v[8:9], off offset:1472
	s_waitcnt lgkmcnt(0)
	v_add_f64 v[8:9], v[0:1], v[19:20]
	v_add_f64 v[29:30], v[21:22], v[2:3]
	v_add_f64 v[19:20], v[0:1], -v[19:20]
	v_add_f64 v[0:1], v[2:3], -v[21:22]
	s_waitcnt vmcnt(3)
	v_fma_f64 v[2:3], v[19:20], v[6:7], v[8:9]
	v_fma_f64 v[21:22], v[29:30], v[6:7], v[0:1]
	v_fma_f64 v[8:9], -v[19:20], v[6:7], v[8:9]
	v_fma_f64 v[31:32], v[29:30], v[6:7], -v[0:1]
	v_fma_f64 v[0:1], -v[29:30], v[4:5], v[2:3]
	v_fma_f64 v[2:3], v[19:20], v[4:5], v[21:22]
	v_fma_f64 v[6:7], v[29:30], v[4:5], v[8:9]
	;; [unrolled: 1-line block ×3, first 2 shown]
	v_add_co_u32 v19, s0, 0x2000, v27
	v_add_co_ci_u32_e64 v20, s0, 0, v28, s0
	ds_write_b128 v106, v[0:3] offset:1904
	ds_write_b128 v10, v[6:9] offset:24752
	ds_read_b128 v[0:3], v106 offset:3808
	ds_read_b128 v[4:7], v10 offset:22848
	global_load_dwordx4 v[19:22], v[19:20], off offset:1328
	s_waitcnt lgkmcnt(0)
	v_add_f64 v[8:9], v[0:1], v[4:5]
	v_add_f64 v[29:30], v[6:7], v[2:3]
	v_add_f64 v[31:32], v[0:1], -v[4:5]
	v_add_f64 v[0:1], v[2:3], -v[6:7]
	s_waitcnt vmcnt(3)
	v_fma_f64 v[2:3], v[31:32], v[13:14], v[8:9]
	v_fma_f64 v[4:5], v[29:30], v[13:14], v[0:1]
	v_fma_f64 v[6:7], -v[31:32], v[13:14], v[8:9]
	v_fma_f64 v[8:9], v[29:30], v[13:14], -v[0:1]
	v_fma_f64 v[0:1], -v[29:30], v[11:12], v[2:3]
	v_fma_f64 v[2:3], v[31:32], v[11:12], v[4:5]
	v_fma_f64 v[4:5], v[29:30], v[11:12], v[6:7]
	;; [unrolled: 1-line block ×3, first 2 shown]
	v_add_co_u32 v8, s0, 0x2800, v27
	v_add_co_ci_u32_e64 v9, s0, 0, v28, s0
	ds_write_b128 v106, v[0:3] offset:3808
	ds_write_b128 v10, v[4:7] offset:22848
	ds_read_b128 v[0:3], v106 offset:5712
	ds_read_b128 v[4:7], v10 offset:20944
	global_load_dwordx4 v[11:14], v[8:9], off offset:1184
	s_waitcnt lgkmcnt(0)
	v_add_f64 v[8:9], v[0:1], v[4:5]
	v_add_f64 v[27:28], v[6:7], v[2:3]
	v_add_f64 v[29:30], v[0:1], -v[4:5]
	v_add_f64 v[0:1], v[2:3], -v[6:7]
	s_waitcnt vmcnt(3)
	v_fma_f64 v[2:3], v[29:30], v[17:18], v[8:9]
	v_fma_f64 v[4:5], v[27:28], v[17:18], v[0:1]
	v_fma_f64 v[6:7], -v[29:30], v[17:18], v[8:9]
	v_fma_f64 v[8:9], v[27:28], v[17:18], -v[0:1]
	v_fma_f64 v[0:1], -v[27:28], v[15:16], v[2:3]
	v_fma_f64 v[2:3], v[29:30], v[15:16], v[4:5]
	v_fma_f64 v[4:5], v[27:28], v[15:16], v[6:7]
	v_fma_f64 v[6:7], v[29:30], v[15:16], v[8:9]
	ds_write_b128 v106, v[0:3] offset:5712
	ds_write_b128 v10, v[4:7] offset:20944
	ds_read_b128 v[0:3], v106 offset:7616
	ds_read_b128 v[4:7], v10 offset:19040
	s_waitcnt lgkmcnt(0)
	v_add_f64 v[8:9], v[0:1], v[4:5]
	v_add_f64 v[15:16], v[6:7], v[2:3]
	v_add_f64 v[17:18], v[0:1], -v[4:5]
	v_add_f64 v[0:1], v[2:3], -v[6:7]
	s_waitcnt vmcnt(2)
	v_fma_f64 v[2:3], v[17:18], v[25:26], v[8:9]
	v_fma_f64 v[4:5], v[15:16], v[25:26], v[0:1]
	v_fma_f64 v[6:7], -v[17:18], v[25:26], v[8:9]
	v_fma_f64 v[8:9], v[15:16], v[25:26], -v[0:1]
	v_fma_f64 v[0:1], -v[15:16], v[23:24], v[2:3]
	v_fma_f64 v[2:3], v[17:18], v[23:24], v[4:5]
	v_fma_f64 v[4:5], v[15:16], v[23:24], v[6:7]
	v_fma_f64 v[6:7], v[17:18], v[23:24], v[8:9]
	ds_write_b128 v106, v[0:3] offset:7616
	ds_write_b128 v10, v[4:7] offset:19040
	ds_read_b128 v[0:3], v106 offset:9520
	ds_read_b128 v[4:7], v10 offset:17136
	;; [unrolled: 18-line block ×3, first 2 shown]
	s_waitcnt lgkmcnt(0)
	v_add_f64 v[8:9], v[0:1], v[4:5]
	v_add_f64 v[15:16], v[6:7], v[2:3]
	v_add_f64 v[17:18], v[0:1], -v[4:5]
	v_add_f64 v[0:1], v[2:3], -v[6:7]
	s_waitcnt vmcnt(0)
	v_fma_f64 v[2:3], v[17:18], v[13:14], v[8:9]
	v_fma_f64 v[4:5], v[15:16], v[13:14], v[0:1]
	v_fma_f64 v[6:7], -v[17:18], v[13:14], v[8:9]
	v_fma_f64 v[8:9], v[15:16], v[13:14], -v[0:1]
	v_fma_f64 v[0:1], -v[15:16], v[11:12], v[2:3]
	v_fma_f64 v[2:3], v[17:18], v[11:12], v[4:5]
	v_fma_f64 v[4:5], v[15:16], v[11:12], v[6:7]
	;; [unrolled: 1-line block ×3, first 2 shown]
	ds_write_b128 v106, v[0:3] offset:11424
	ds_write_b128 v10, v[4:7] offset:15232
	s_waitcnt lgkmcnt(0)
	s_barrier
	buffer_gl0_inv
	s_barrier
	buffer_gl0_inv
	ds_read_b128 v[0:3], v106
	ds_read_b128 v[64:67], v106 offset:1568
	ds_read_b128 v[60:63], v106 offset:3136
	;; [unrolled: 1-line block ×16, first 2 shown]
	s_waitcnt lgkmcnt(0)
	s_barrier
	buffer_gl0_inv
	v_cmpx_gt_u32_e32 0x62, v70
	s_cbranch_execz .LBB0_21
; %bb.20:
	v_add_f64 v[74:75], v[2:3], v[66:67]
	v_add_f64 v[76:77], v[0:1], v[64:65]
	v_add_f64 v[104:105], v[64:65], -v[4:5]
	v_add_f64 v[102:103], v[66:67], -v[6:7]
	s_mov_b32 s4, 0xacd6c6b4
	s_mov_b32 s5, 0xbfc7851a
	v_add_f64 v[96:97], v[60:61], -v[8:9]
	v_add_f64 v[92:93], v[62:63], -v[10:11]
	v_add_f64 v[98:99], v[66:67], v[6:7]
	v_add_f64 v[100:101], v[64:65], v[4:5]
	s_mov_b32 s8, 0x5d8e7cdc
	s_mov_b32 s0, 0x7faef3
	;; [unrolled: 1-line block ×4, first 2 shown]
	v_add_f64 v[94:95], v[56:57], -v[12:13]
	v_add_f64 v[88:89], v[58:59], -v[14:15]
	v_add_f64 v[66:67], v[62:63], v[10:11]
	s_mov_b32 s16, 0x4363dd80
	s_mov_b32 s6, 0x370991
	;; [unrolled: 1-line block ×4, first 2 shown]
	v_add_f64 v[90:91], v[52:53], -v[16:17]
	v_add_f64 v[74:75], v[74:75], v[62:63]
	v_add_f64 v[76:77], v[76:77], v[60:61]
	v_mul_f64 v[107:108], v[104:105], s[4:5]
	v_mul_f64 v[109:110], v[102:103], s[4:5]
	v_add_f64 v[60:61], v[60:61], v[8:9]
	v_add_f64 v[84:85], v[54:55], -v[18:19]
	v_mul_f64 v[111:112], v[96:97], s[8:9]
	v_mul_f64 v[113:114], v[92:93], s[8:9]
	v_add_f64 v[64:65], v[58:59], v[14:15]
	s_mov_b32 s28, 0x2a9d6da3
	s_mov_b32 s14, 0x910ea3b9
	;; [unrolled: 1-line block ×4, first 2 shown]
	v_add_f64 v[86:87], v[48:49], -v[20:21]
	v_mul_f64 v[115:116], v[94:95], s[16:17]
	v_mul_f64 v[117:118], v[88:89], s[16:17]
	v_add_f64 v[82:83], v[50:51], -v[22:23]
	s_mov_b32 s24, 0x6c9a05f6
	s_mov_b32 s18, 0x75d4884
	;; [unrolled: 1-line block ×4, first 2 shown]
	v_mul_f64 v[119:120], v[90:91], s[28:29]
	v_add_f64 v[74:75], v[74:75], v[58:59]
	v_add_f64 v[76:77], v[76:77], v[56:57]
	;; [unrolled: 1-line block ×3, first 2 shown]
	v_fma_f64 v[78:79], v[100:101], s[0:1], -v[109:110]
	s_mov_b32 s26, 0x7c9e640b
	v_mul_f64 v[121:122], v[84:85], s[28:29]
	s_mov_b32 s20, 0x6ed5f1bb
	v_fma_f64 v[80:81], v[60:61], s[6:7], -v[113:114]
	s_mov_b32 s27, 0x3feca52d
	s_mov_b32 s21, 0xbfe348c8
	;; [unrolled: 1-line block ×5, first 2 shown]
	v_mul_f64 v[127:128], v[86:87], s[24:25]
	v_fma_f64 v[123:124], v[64:65], s[14:15], v[115:116]
	s_mov_b32 s23, 0x3fdc86fa
	v_mul_f64 v[129:130], v[82:83], s[24:25]
	s_mov_b32 s50, 0xeb564b22
	s_mov_b32 s30, 0xc61f0d01
	;; [unrolled: 1-line block ×5, first 2 shown]
	v_add_f64 v[62:63], v[74:75], v[54:55]
	v_add_f64 v[74:75], v[76:77], v[52:53]
	v_fma_f64 v[76:77], v[98:99], s[0:1], v[107:108]
	v_add_f64 v[78:79], v[0:1], v[78:79]
	v_add_f64 v[54:55], v[54:55], v[18:19]
	;; [unrolled: 1-line block ×3, first 2 shown]
	v_fma_f64 v[125:126], v[56:57], s[14:15], -v[117:118]
	s_mov_b32 s37, 0x3fb79ee6
	v_fma_f64 v[107:108], v[98:99], s[0:1], -v[107:108]
	s_mov_b32 s39, 0xbfefdd0d
	s_mov_b32 s43, 0x3feec746
	s_mov_b32 s38, s50
	s_mov_b32 s42, s34
	v_mul_f64 v[153:154], v[102:103], s[24:25]
	v_mul_f64 v[155:156], v[94:95], s[38:39]
	;; [unrolled: 1-line block ×4, first 2 shown]
	v_fma_f64 v[113:114], v[60:61], s[6:7], v[113:114]
	s_mov_b32 s49, 0x3fe9895b
	s_mov_b32 s41, 0xbfd71e95
	;; [unrolled: 1-line block ×4, first 2 shown]
	v_add_f64 v[58:59], v[62:63], v[50:51]
	v_add_f64 v[62:63], v[74:75], v[48:49]
	v_fma_f64 v[74:75], v[66:67], s[6:7], v[111:112]
	v_add_f64 v[76:77], v[2:3], v[76:77]
	v_add_f64 v[50:51], v[50:51], v[22:23]
	;; [unrolled: 1-line block ×3, first 2 shown]
	v_fma_f64 v[131:132], v[54:55], s[18:19], v[119:120]
	v_fma_f64 v[133:134], v[52:53], s[18:19], -v[121:122]
	v_fma_f64 v[111:112], v[66:67], s[6:7], -v[111:112]
	v_add_f64 v[107:108], v[2:3], v[107:108]
	v_fma_f64 v[115:116], v[64:65], s[14:15], -v[115:116]
	v_fma_f64 v[117:118], v[56:57], s[14:15], v[117:118]
	v_fma_f64 v[119:120], v[54:55], s[18:19], -v[119:120]
	v_fma_f64 v[121:122], v[52:53], s[18:19], v[121:122]
	s_mov_b32 s47, 0x3fe0d888
	s_mov_b32 s46, s16
	;; [unrolled: 1-line block ×6, first 2 shown]
	v_add_f64 v[58:59], v[58:59], v[46:47]
	v_add_f64 v[62:63], v[62:63], v[44:45]
	;; [unrolled: 1-line block ×4, first 2 shown]
	v_add_f64 v[80:81], v[44:45], -v[24:25]
	v_add_f64 v[78:79], v[46:47], -v[26:27]
	v_add_f64 v[46:47], v[46:47], v[26:27]
	v_add_f64 v[44:45], v[44:45], v[24:25]
	v_fma_f64 v[143:144], v[50:51], s[20:21], v[127:128]
	v_fma_f64 v[145:146], v[48:49], s[20:21], -v[129:130]
	v_add_f64 v[107:108], v[111:112], v[107:108]
	v_mul_f64 v[111:112], v[92:93], s[42:43]
	v_fma_f64 v[127:128], v[50:51], s[20:21], -v[127:128]
	v_fma_f64 v[129:130], v[48:49], s[20:21], v[129:130]
	v_add_f64 v[58:59], v[58:59], v[42:43]
	v_add_f64 v[62:63], v[62:63], v[40:41]
	;; [unrolled: 1-line block ×4, first 2 shown]
	v_add_f64 v[76:77], v[40:41], -v[28:29]
	v_add_f64 v[74:75], v[42:43], -v[30:31]
	v_mul_f64 v[139:140], v[80:81], s[26:27]
	v_mul_f64 v[141:142], v[78:79], s[26:27]
	v_add_f64 v[42:43], v[42:43], v[30:31]
	v_add_f64 v[40:41], v[40:41], v[28:29]
	;; [unrolled: 1-line block ×3, first 2 shown]
	v_mul_f64 v[115:116], v[86:87], s[40:41]
	v_add_f64 v[135:136], v[58:59], v[34:35]
	v_add_f64 v[137:138], v[62:63], v[32:33]
	v_add_f64 v[62:63], v[32:33], -v[36:37]
	v_add_f64 v[123:124], v[131:132], v[123:124]
	v_add_f64 v[125:126], v[133:134], v[125:126]
	v_add_f64 v[58:59], v[34:35], -v[38:39]
	v_add_f64 v[34:35], v[34:35], v[38:39]
	v_fma_f64 v[147:148], v[46:47], s[22:23], v[139:140]
	v_fma_f64 v[149:150], v[44:45], s[22:23], -v[141:142]
	v_add_f64 v[32:33], v[32:33], v[36:37]
	v_fma_f64 v[139:140], v[46:47], s[22:23], -v[139:140]
	v_add_f64 v[107:108], v[119:120], v[107:108]
	v_mul_f64 v[119:120], v[78:79], s[4:5]
	v_fma_f64 v[141:142], v[44:45], s[22:23], v[141:142]
	v_add_f64 v[131:132], v[135:136], v[38:39]
	v_add_f64 v[133:134], v[137:138], v[36:37]
	v_mul_f64 v[135:136], v[76:77], s[34:35]
	v_mul_f64 v[137:138], v[74:75], s[34:35]
	v_add_f64 v[123:124], v[143:144], v[123:124]
	v_add_f64 v[125:126], v[145:146], v[125:126]
	v_mul_f64 v[145:146], v[102:103], s[16:17]
	v_add_f64 v[107:108], v[127:128], v[107:108]
	v_mul_f64 v[127:128], v[62:63], s[34:35]
	v_add_f64 v[36:37], v[131:132], v[30:31]
	v_add_f64 v[38:39], v[133:134], v[28:29]
	v_mul_f64 v[28:29], v[62:63], s[50:51]
	v_mul_f64 v[30:31], v[58:59], s[50:51]
	;; [unrolled: 1-line block ×3, first 2 shown]
	v_fma_f64 v[133:134], v[42:43], s[30:31], v[135:136]
	v_fma_f64 v[143:144], v[40:41], s[30:31], -v[137:138]
	v_add_f64 v[123:124], v[147:148], v[123:124]
	v_add_f64 v[125:126], v[149:150], v[125:126]
	v_fma_f64 v[151:152], v[100:101], s[14:15], -v[145:146]
	v_fma_f64 v[145:146], v[100:101], s[14:15], v[145:146]
	v_add_f64 v[107:108], v[139:140], v[107:108]
	v_fma_f64 v[135:136], v[42:43], s[30:31], -v[135:136]
	v_fma_f64 v[137:138], v[40:41], s[30:31], v[137:138]
	v_mul_f64 v[139:140], v[58:59], s[34:35]
	v_add_f64 v[26:27], v[36:37], v[26:27]
	v_add_f64 v[24:25], v[38:39], v[24:25]
	v_mul_f64 v[36:37], v[96:97], s[26:27]
	v_fma_f64 v[38:39], v[100:101], s[0:1], v[109:110]
	v_fma_f64 v[109:110], v[34:35], s[36:37], v[28:29]
	v_fma_f64 v[147:148], v[32:33], s[36:37], -v[30:31]
	v_fma_f64 v[149:150], v[98:99], s[14:15], v[131:132]
	v_add_f64 v[123:124], v[133:134], v[123:124]
	v_add_f64 v[125:126], v[143:144], v[125:126]
	v_mul_f64 v[133:134], v[104:105], s[24:25]
	v_mul_f64 v[143:144], v[92:93], s[26:27]
	v_fma_f64 v[131:132], v[98:99], s[14:15], -v[131:132]
	v_add_f64 v[145:146], v[0:1], v[145:146]
	v_add_f64 v[107:108], v[135:136], v[107:108]
	v_fma_f64 v[30:31], v[32:33], s[36:37], v[30:31]
	v_add_f64 v[26:27], v[26:27], v[22:23]
	v_add_f64 v[24:25], v[24:25], v[20:21]
	v_fma_f64 v[161:162], v[66:67], s[22:23], v[36:37]
	v_add_f64 v[38:39], v[0:1], v[38:39]
	v_fma_f64 v[36:37], v[66:67], s[22:23], -v[36:37]
	v_add_f64 v[149:150], v[2:3], v[149:150]
	v_add_f64 v[22:23], v[109:110], v[123:124]
	;; [unrolled: 1-line block ×3, first 2 shown]
	v_fma_f64 v[109:110], v[98:99], s[20:21], v[133:134]
	v_fma_f64 v[123:124], v[60:61], s[22:23], -v[143:144]
	v_add_f64 v[125:126], v[0:1], v[151:152]
	v_add_f64 v[131:132], v[2:3], v[131:132]
	v_fma_f64 v[143:144], v[60:61], s[22:23], v[143:144]
	v_fma_f64 v[133:134], v[98:99], s[20:21], -v[133:134]
	v_fma_f64 v[151:152], v[64:65], s[36:37], -v[155:156]
	v_add_f64 v[18:19], v[26:27], v[18:19]
	v_add_f64 v[16:17], v[24:25], v[16:17]
	v_mul_f64 v[24:25], v[90:91], s[48:49]
	v_mul_f64 v[26:27], v[94:95], s[40:41]
	v_add_f64 v[38:39], v[113:114], v[38:39]
	v_fma_f64 v[113:114], v[100:101], s[20:21], -v[153:154]
	v_add_f64 v[147:148], v[161:162], v[149:150]
	v_fma_f64 v[149:150], v[66:67], s[30:31], v[157:158]
	v_fma_f64 v[157:158], v[66:67], s[30:31], -v[157:158]
	v_add_f64 v[109:110], v[2:3], v[109:110]
	v_fma_f64 v[153:154], v[100:101], s[20:21], v[153:154]
	v_add_f64 v[123:124], v[123:124], v[125:126]
	v_fma_f64 v[125:126], v[64:65], s[36:37], v[155:156]
	v_add_f64 v[36:37], v[36:37], v[131:132]
	v_fma_f64 v[131:132], v[56:57], s[36:37], -v[159:160]
	v_add_f64 v[143:144], v[143:144], v[145:146]
	v_mul_f64 v[145:146], v[84:85], s[48:49]
	v_fma_f64 v[155:156], v[56:57], s[36:37], v[159:160]
	v_add_f64 v[133:134], v[2:3], v[133:134]
	v_fma_f64 v[159:160], v[34:35], s[36:37], -v[28:29]
	v_mul_f64 v[28:29], v[62:63], s[26:27]
	v_add_f64 v[14:15], v[18:19], v[14:15]
	v_add_f64 v[12:13], v[16:17], v[12:13]
	v_mul_f64 v[16:17], v[88:89], s[40:41]
	v_mul_f64 v[18:19], v[90:91], s[16:17]
	v_add_f64 v[38:39], v[117:118], v[38:39]
	v_fma_f64 v[117:118], v[60:61], s[30:31], -v[111:112]
	v_add_f64 v[113:114], v[0:1], v[113:114]
	v_fma_f64 v[111:112], v[60:61], s[30:31], v[111:112]
	v_add_f64 v[109:110], v[149:150], v[109:110]
	v_fma_f64 v[149:150], v[64:65], s[6:7], v[26:27]
	v_fma_f64 v[26:27], v[64:65], s[6:7], -v[26:27]
	v_add_f64 v[125:126], v[125:126], v[147:148]
	v_fma_f64 v[147:148], v[54:55], s[20:21], v[24:25]
	v_add_f64 v[123:124], v[131:132], v[123:124]
	v_add_f64 v[36:37], v[151:152], v[36:37]
	v_fma_f64 v[131:132], v[52:53], s[20:21], -v[145:146]
	v_mul_f64 v[151:152], v[82:83], s[40:41]
	v_fma_f64 v[24:25], v[54:55], s[20:21], -v[24:25]
	v_add_f64 v[143:144], v[155:156], v[143:144]
	v_mul_f64 v[155:156], v[80:81], s[4:5]
	v_fma_f64 v[145:146], v[52:53], s[20:21], v[145:146]
	v_add_f64 v[133:134], v[157:158], v[133:134]
	v_add_f64 v[153:154], v[0:1], v[153:154]
	v_fma_f64 v[157:158], v[56:57], s[6:7], -v[16:17]
	v_fma_f64 v[16:17], v[56:57], s[6:7], v[16:17]
	v_add_f64 v[38:39], v[121:122], v[38:39]
	v_mul_f64 v[121:122], v[84:85], s[16:17]
	v_add_f64 v[113:114], v[117:118], v[113:114]
	v_mul_f64 v[117:118], v[86:87], s[50:51]
	v_add_f64 v[161:162], v[14:15], v[10:11]
	v_add_f64 v[163:164], v[12:13], v[8:9]
	;; [unrolled: 1-line block ×3, first 2 shown]
	v_fma_f64 v[149:150], v[54:55], s[14:15], v[18:19]
	v_fma_f64 v[18:19], v[54:55], s[14:15], -v[18:19]
	v_add_f64 v[125:126], v[147:148], v[125:126]
	v_fma_f64 v[147:148], v[50:51], s[6:7], v[115:116]
	v_fma_f64 v[115:116], v[50:51], s[6:7], -v[115:116]
	v_add_f64 v[123:124], v[131:132], v[123:124]
	v_fma_f64 v[131:132], v[48:49], s[6:7], -v[151:152]
	v_add_f64 v[24:25], v[24:25], v[36:37]
	v_mul_f64 v[36:37], v[76:77], s[28:29]
	v_fma_f64 v[151:152], v[48:49], s[6:7], v[151:152]
	v_add_f64 v[143:144], v[145:146], v[143:144]
	v_mul_f64 v[145:146], v[74:75], s[28:29]
	v_add_f64 v[26:27], v[26:27], v[133:134]
	v_mul_f64 v[133:134], v[96:97], s[46:47]
	v_add_f64 v[111:112], v[111:112], v[153:154]
	v_add_f64 v[38:39], v[129:130], v[38:39]
	v_mul_f64 v[129:130], v[82:83], s[50:51]
	v_add_f64 v[113:114], v[157:158], v[113:114]
	v_fma_f64 v[157:158], v[52:53], s[14:15], -v[121:122]
	v_mul_f64 v[153:154], v[76:77], s[4:5]
	v_fma_f64 v[12:13], v[34:35], s[30:31], v[127:128]
	v_fma_f64 v[121:122], v[52:53], s[14:15], v[121:122]
	v_add_f64 v[109:110], v[149:150], v[109:110]
	v_mul_f64 v[149:150], v[104:105], s[34:35]
	v_add_f64 v[10:11], v[159:160], v[107:108]
	v_add_f64 v[125:126], v[147:148], v[125:126]
	v_fma_f64 v[147:148], v[50:51], s[36:37], v[117:118]
	v_mul_f64 v[107:108], v[104:105], s[38:39]
	v_add_f64 v[123:124], v[131:132], v[123:124]
	v_fma_f64 v[131:132], v[46:47], s[0:1], v[155:156]
	v_add_f64 v[24:25], v[115:116], v[24:25]
	v_fma_f64 v[115:116], v[44:45], s[0:1], -v[119:120]
	v_fma_f64 v[155:156], v[46:47], s[0:1], -v[155:156]
	v_add_f64 v[143:144], v[151:152], v[143:144]
	v_fma_f64 v[119:120], v[44:45], s[0:1], v[119:120]
	v_mul_f64 v[151:152], v[80:81], s[44:45]
	v_fma_f64 v[14:15], v[66:67], s[14:15], v[133:134]
	v_add_f64 v[38:39], v[141:142], v[38:39]
	v_mul_f64 v[141:142], v[78:79], s[44:45]
	v_fma_f64 v[135:136], v[48:49], s[36:37], -v[129:130]
	v_add_f64 v[113:114], v[157:158], v[113:114]
	v_mul_f64 v[157:158], v[102:103], s[34:35]
	v_add_f64 v[16:17], v[16:17], v[111:112]
	v_fma_f64 v[111:112], v[32:33], s[30:31], -v[139:140]
	v_add_f64 v[26:27], v[18:19], v[26:27]
	v_fma_f64 v[133:134], v[66:67], s[14:15], -v[133:134]
	v_fma_f64 v[127:128], v[34:35], s[30:31], -v[127:128]
	v_fma_f64 v[139:140], v[32:33], s[30:31], v[139:140]
	v_add_f64 v[109:110], v[147:148], v[109:110]
	v_fma_f64 v[147:148], v[98:99], s[30:31], v[149:150]
	v_add_f64 v[6:7], v[161:162], v[6:7]
	v_add_f64 v[125:126], v[131:132], v[125:126]
	v_fma_f64 v[131:132], v[42:43], s[18:19], v[36:37]
	v_add_f64 v[115:116], v[115:116], v[123:124]
	v_fma_f64 v[123:124], v[40:41], s[18:19], -v[145:146]
	v_add_f64 v[24:25], v[155:156], v[24:25]
	v_fma_f64 v[36:37], v[42:43], s[18:19], -v[36:37]
	v_add_f64 v[119:120], v[119:120], v[143:144]
	v_mul_f64 v[143:144], v[94:95], s[28:29]
	v_add_f64 v[38:39], v[137:138], v[38:39]
	v_fma_f64 v[145:146], v[40:41], s[18:19], v[145:146]
	v_mul_f64 v[155:156], v[74:75], s[4:5]
	v_fma_f64 v[137:138], v[46:47], s[18:19], v[151:152]
	v_add_f64 v[113:114], v[135:136], v[113:114]
	v_fma_f64 v[135:136], v[44:45], s[18:19], -v[141:142]
	v_fma_f64 v[18:19], v[100:101], s[30:31], v[157:158]
	v_mul_f64 v[159:160], v[102:103], s[38:39]
	v_mul_f64 v[161:162], v[86:87], s[4:5]
	v_fma_f64 v[117:118], v[50:51], s[36:37], -v[117:118]
	v_fma_f64 v[151:152], v[46:47], s[18:19], -v[151:152]
	v_add_f64 v[4:5], v[163:164], v[4:5]
	v_add_f64 v[147:148], v[2:3], v[147:148]
	;; [unrolled: 1-line block ×3, first 2 shown]
	v_mul_f64 v[131:132], v[92:93], s[46:47]
	v_add_f64 v[115:116], v[123:124], v[115:116]
	v_fma_f64 v[123:124], v[100:101], s[30:31], -v[157:158]
	v_add_f64 v[24:25], v[36:37], v[24:25]
	v_fma_f64 v[36:37], v[98:99], s[30:31], -v[149:150]
	v_mul_f64 v[157:158], v[88:89], s[28:29]
	v_add_f64 v[8:9], v[30:31], v[38:39]
	v_add_f64 v[38:39], v[145:146], v[119:120]
	v_fma_f64 v[145:146], v[64:65], s[18:19], v[143:144]
	v_add_f64 v[109:110], v[137:138], v[109:110]
	v_fma_f64 v[137:138], v[42:43], s[0:1], v[153:154]
	v_mul_f64 v[30:31], v[58:59], s[26:27]
	v_fma_f64 v[143:144], v[64:65], s[18:19], -v[143:144]
	v_fma_f64 v[153:154], v[42:43], s[0:1], -v[153:154]
	v_add_f64 v[117:118], v[117:118], v[26:27]
	v_add_f64 v[119:120], v[14:15], v[147:148]
	v_mul_f64 v[147:148], v[90:91], s[52:53]
	v_add_f64 v[14:15], v[12:13], v[125:126]
	v_fma_f64 v[149:150], v[60:61], s[14:15], -v[131:132]
	v_add_f64 v[12:13], v[111:112], v[115:116]
	v_add_f64 v[123:124], v[0:1], v[123:124]
	;; [unrolled: 1-line block ×4, first 2 shown]
	v_fma_f64 v[113:114], v[40:41], s[0:1], -v[155:156]
	v_add_f64 v[115:116], v[121:122], v[16:17]
	v_fma_f64 v[121:122], v[48:49], s[36:37], v[129:130]
	v_fma_f64 v[125:126], v[60:61], s[14:15], v[131:132]
	v_add_f64 v[129:130], v[0:1], v[18:19]
	v_fma_f64 v[131:132], v[98:99], s[36:37], v[107:108]
	v_mul_f64 v[135:136], v[96:97], s[4:5]
	v_add_f64 v[18:19], v[127:128], v[24:25]
	v_add_f64 v[24:25], v[137:138], v[109:110]
	v_fma_f64 v[109:110], v[34:35], s[22:23], v[28:29]
	v_add_f64 v[16:17], v[139:140], v[38:39]
	v_mul_f64 v[137:138], v[92:93], s[4:5]
	v_fma_f64 v[139:140], v[50:51], s[0:1], v[161:162]
	v_add_f64 v[119:120], v[145:146], v[119:120]
	v_fma_f64 v[145:146], v[54:55], s[22:23], v[147:148]
	v_fma_f64 v[147:148], v[54:55], s[22:23], -v[147:148]
	v_fma_f64 v[107:108], v[98:99], s[36:37], -v[107:108]
	v_add_f64 v[117:118], v[151:152], v[117:118]
	v_mul_f64 v[151:152], v[74:75], s[40:41]
	v_add_f64 v[123:124], v[149:150], v[123:124]
	v_fma_f64 v[149:150], v[56:57], s[18:19], -v[157:158]
	v_add_f64 v[36:37], v[133:134], v[36:37]
	v_mul_f64 v[133:134], v[84:85], s[52:53]
	v_add_f64 v[38:39], v[113:114], v[111:112]
	v_fma_f64 v[111:112], v[32:33], s[22:23], -v[30:31]
	v_add_f64 v[113:114], v[121:122], v[115:116]
	v_add_f64 v[115:116], v[125:126], v[129:130]
	v_fma_f64 v[121:122], v[56:57], s[18:19], v[157:158]
	v_add_f64 v[125:126], v[2:3], v[131:132]
	v_fma_f64 v[127:128], v[66:67], s[0:1], v[135:136]
	v_mul_f64 v[129:130], v[94:95], s[42:43]
	v_fma_f64 v[131:132], v[100:101], s[36:37], -v[159:160]
	v_add_f64 v[26:27], v[109:110], v[24:25]
	v_fma_f64 v[109:110], v[44:45], s[18:19], v[141:142]
	v_fma_f64 v[157:158], v[50:51], s[0:1], -v[161:162]
	v_fma_f64 v[135:136], v[66:67], s[0:1], -v[135:136]
	v_add_f64 v[119:120], v[145:146], v[119:120]
	v_mul_f64 v[145:146], v[80:81], s[50:51]
	v_add_f64 v[107:108], v[2:3], v[107:108]
	v_fma_f64 v[28:29], v[34:35], s[22:23], -v[28:29]
	v_add_f64 v[123:124], v[149:150], v[123:124]
	v_add_f64 v[36:37], v[143:144], v[36:37]
	v_fma_f64 v[149:150], v[52:53], s[22:23], -v[133:134]
	v_mul_f64 v[143:144], v[82:83], s[4:5]
	v_add_f64 v[24:25], v[111:112], v[38:39]
	v_fma_f64 v[111:112], v[52:53], s[22:23], v[133:134]
	v_mul_f64 v[133:134], v[88:89], s[42:43]
	v_add_f64 v[38:39], v[121:122], v[115:116]
	v_add_f64 v[115:116], v[127:128], v[125:126]
	v_fma_f64 v[121:122], v[64:65], s[30:31], v[129:130]
	v_mul_f64 v[125:126], v[90:91], s[8:9]
	v_add_f64 v[127:128], v[0:1], v[131:132]
	v_fma_f64 v[131:132], v[60:61], s[0:1], -v[137:138]
	v_add_f64 v[109:110], v[109:110], v[113:114]
	v_fma_f64 v[137:138], v[60:61], s[0:1], v[137:138]
	v_add_f64 v[119:120], v[139:140], v[119:120]
	v_fma_f64 v[139:140], v[46:47], s[36:37], v[145:146]
	v_fma_f64 v[145:146], v[46:47], s[36:37], -v[145:146]
	v_add_f64 v[107:108], v[135:136], v[107:108]
	v_fma_f64 v[129:130], v[64:65], s[30:31], -v[129:130]
	v_mul_f64 v[135:136], v[82:83], s[52:53]
	v_add_f64 v[36:37], v[147:148], v[36:37]
	v_add_f64 v[123:124], v[149:150], v[123:124]
	v_fma_f64 v[141:142], v[48:49], s[0:1], -v[143:144]
	v_mul_f64 v[147:148], v[78:79], s[50:51]
	v_fma_f64 v[149:150], v[100:101], s[36:37], v[159:160]
	v_mul_f64 v[159:160], v[104:105], s[52:53]
	v_add_f64 v[38:39], v[111:112], v[38:39]
	v_fma_f64 v[111:112], v[48:49], s[0:1], v[143:144]
	v_mul_f64 v[143:144], v[84:85], s[8:9]
	v_add_f64 v[113:114], v[121:122], v[115:116]
	;; [unrolled: 3-line block ×3, first 2 shown]
	v_fma_f64 v[131:132], v[56:57], s[30:31], -v[133:134]
	v_fma_f64 v[133:134], v[56:57], s[30:31], v[133:134]
	s_mov_b32 s51, 0x3fc7851a
	v_add_f64 v[119:120], v[139:140], v[119:120]
	v_mul_f64 v[139:140], v[76:77], s[40:41]
	s_mov_b32 s50, s4
	v_add_f64 v[107:108], v[129:130], v[107:108]
	v_fma_f64 v[129:130], v[48:49], s[22:23], -v[135:136]
	v_fma_f64 v[125:126], v[54:55], s[6:7], -v[125:126]
	v_add_f64 v[157:158], v[157:158], v[36:37]
	v_fma_f64 v[36:37], v[40:41], s[0:1], v[155:156]
	v_add_f64 v[123:124], v[141:142], v[123:124]
	v_fma_f64 v[141:142], v[44:45], s[36:37], -v[147:148]
	v_add_f64 v[149:150], v[0:1], v[149:150]
	v_mul_f64 v[155:156], v[80:81], s[16:17]
	v_fma_f64 v[147:148], v[44:45], s[36:37], v[147:148]
	v_add_f64 v[111:112], v[111:112], v[38:39]
	v_add_f64 v[38:39], v[153:154], v[117:118]
	v_fma_f64 v[117:118], v[98:99], s[22:23], v[159:160]
	v_add_f64 v[113:114], v[115:116], v[113:114]
	v_fma_f64 v[115:116], v[50:51], s[22:23], v[121:122]
	v_mul_f64 v[153:154], v[102:103], s[52:53]
	v_add_f64 v[127:128], v[131:132], v[127:128]
	v_fma_f64 v[131:132], v[52:53], s[6:7], -v[143:144]
	v_fma_f64 v[121:122], v[50:51], s[22:23], -v[121:122]
	v_fma_f64 v[135:136], v[48:49], s[22:23], v[135:136]
	v_add_f64 v[107:108], v[125:126], v[107:108]
	v_add_f64 v[145:146], v[145:146], v[157:158]
	;; [unrolled: 1-line block ×3, first 2 shown]
	v_mul_f64 v[109:110], v[96:97], s[24:25]
	v_add_f64 v[123:124], v[141:142], v[123:124]
	v_fma_f64 v[141:142], v[42:43], s[6:7], v[139:140]
	v_add_f64 v[137:138], v[137:138], v[149:150]
	v_fma_f64 v[149:150], v[40:41], s[6:7], -v[151:152]
	v_fma_f64 v[157:158], v[98:99], s[22:23], -v[159:160]
	v_add_f64 v[111:112], v[147:148], v[111:112]
	v_add_f64 v[117:118], v[2:3], v[117:118]
	v_fma_f64 v[139:140], v[42:43], s[6:7], -v[139:140]
	v_add_f64 v[113:114], v[115:116], v[113:114]
	v_fma_f64 v[115:116], v[46:47], s[14:15], v[155:156]
	v_fma_f64 v[147:148], v[100:101], s[22:23], -v[153:154]
	v_add_f64 v[127:128], v[131:132], v[127:128]
	v_mul_f64 v[131:132], v[78:79], s[16:17]
	v_fma_f64 v[153:154], v[100:101], s[22:23], v[153:154]
	v_mul_f64 v[125:126], v[74:75], s[48:49]
	v_fma_f64 v[151:152], v[40:41], s[6:7], v[151:152]
	v_fma_f64 v[155:156], v[46:47], s[14:15], -v[155:156]
	v_add_f64 v[107:108], v[121:122], v[107:108]
	v_add_f64 v[119:120], v[141:142], v[119:120]
	;; [unrolled: 1-line block ×3, first 2 shown]
	v_fma_f64 v[137:138], v[52:53], s[6:7], v[143:144]
	v_fma_f64 v[141:142], v[66:67], s[20:21], v[109:110]
	v_mul_f64 v[143:144], v[94:95], s[50:51]
	v_add_f64 v[123:124], v[149:150], v[123:124]
	v_mul_f64 v[149:150], v[92:93], s[24:25]
	v_fma_f64 v[109:110], v[66:67], s[20:21], -v[109:110]
	v_add_f64 v[157:158], v[2:3], v[157:158]
	v_add_f64 v[113:114], v[115:116], v[113:114]
	v_mul_f64 v[115:116], v[76:77], s[48:49]
	v_add_f64 v[127:128], v[129:130], v[127:128]
	v_fma_f64 v[129:130], v[44:45], s[14:15], -v[131:132]
	v_add_f64 v[139:140], v[139:140], v[145:146]
	v_add_f64 v[145:146], v[0:1], v[147:148]
	;; [unrolled: 1-line block ×3, first 2 shown]
	v_fma_f64 v[121:122], v[40:41], s[20:21], -v[125:126]
	v_fma_f64 v[131:132], v[44:45], s[14:15], v[131:132]
	v_add_f64 v[111:112], v[151:152], v[111:112]
	v_mul_f64 v[151:152], v[102:103], s[44:45]
	v_mul_f64 v[102:103], v[102:103], s[40:41]
	v_add_f64 v[107:108], v[155:156], v[107:108]
	v_fma_f64 v[125:126], v[40:41], s[20:21], v[125:126]
	v_add_f64 v[133:134], v[137:138], v[133:134]
	v_add_f64 v[117:118], v[141:142], v[117:118]
	v_fma_f64 v[137:138], v[64:65], s[0:1], v[143:144]
	v_mul_f64 v[141:142], v[90:91], s[42:43]
	v_fma_f64 v[147:148], v[60:61], s[20:21], -v[149:150]
	v_fma_f64 v[143:144], v[64:65], s[0:1], -v[143:144]
	v_add_f64 v[109:110], v[109:110], v[157:158]
	v_mul_f64 v[157:158], v[88:89], s[50:51]
	v_fma_f64 v[149:150], v[60:61], s[20:21], v[149:150]
	v_add_f64 v[127:128], v[129:130], v[127:128]
	v_fma_f64 v[129:130], v[42:43], s[20:21], v[115:116]
	v_fma_f64 v[115:116], v[42:43], s[20:21], -v[115:116]
	v_fma_f64 v[155:156], v[100:101], s[18:19], -v[151:152]
	v_fma_f64 v[151:152], v[100:101], s[18:19], v[151:152]
	v_add_f64 v[133:134], v[135:136], v[133:134]
	v_add_f64 v[117:118], v[137:138], v[117:118]
	v_fma_f64 v[135:136], v[54:55], s[30:31], v[141:142]
	v_mul_f64 v[137:138], v[86:87], s[28:29]
	v_add_f64 v[145:146], v[147:148], v[145:146]
	v_add_f64 v[109:110], v[143:144], v[109:110]
	v_fma_f64 v[147:148], v[56:57], s[0:1], -v[157:158]
	v_mul_f64 v[143:144], v[84:85], s[42:43]
	v_fma_f64 v[141:142], v[54:55], s[30:31], -v[141:142]
	v_add_f64 v[149:150], v[149:150], v[153:154]
	v_mul_f64 v[153:154], v[104:105], s[44:45]
	v_fma_f64 v[157:158], v[56:57], s[0:1], v[157:158]
	v_mul_f64 v[104:105], v[104:105], s[40:41]
	v_add_f64 v[113:114], v[129:130], v[113:114]
	v_add_f64 v[121:122], v[121:122], v[127:128]
	;; [unrolled: 1-line block ×5, first 2 shown]
	v_mul_f64 v[131:132], v[80:81], s[40:41]
	v_add_f64 v[117:118], v[135:136], v[117:118]
	v_fma_f64 v[127:128], v[50:51], s[18:19], v[137:138]
	v_fma_f64 v[137:138], v[50:51], s[18:19], -v[137:138]
	v_add_f64 v[133:134], v[147:148], v[145:146]
	v_fma_f64 v[135:136], v[52:53], s[30:31], -v[143:144]
	v_add_f64 v[109:110], v[141:142], v[109:110]
	v_mul_f64 v[147:148], v[96:97], s[38:39]
	v_fma_f64 v[141:142], v[98:99], s[18:19], v[153:154]
	v_mul_f64 v[145:146], v[82:83], s[28:29]
	v_add_f64 v[149:150], v[157:158], v[149:150]
	v_fma_f64 v[143:144], v[52:53], s[30:31], v[143:144]
	v_fma_f64 v[153:154], v[98:99], s[18:19], -v[153:154]
	v_fma_f64 v[157:158], v[98:99], s[6:7], v[104:105]
	v_fma_f64 v[98:99], v[98:99], s[6:7], -v[104:105]
	v_fma_f64 v[104:105], v[100:101], s[6:7], -v[102:103]
	v_fma_f64 v[100:101], v[100:101], s[6:7], v[102:103]
	v_mul_f64 v[102:103], v[92:93], s[38:39]
	v_mul_f64 v[96:97], v[96:97], s[44:45]
	;; [unrolled: 1-line block ×3, first 2 shown]
	v_fma_f64 v[115:116], v[46:47], s[6:7], v[131:132]
	v_fma_f64 v[131:132], v[46:47], s[6:7], -v[131:132]
	v_add_f64 v[125:126], v[125:126], v[129:130]
	v_add_f64 v[117:118], v[127:128], v[117:118]
	v_mul_f64 v[129:130], v[62:63], s[24:25]
	v_add_f64 v[127:128], v[135:136], v[133:134]
	v_add_f64 v[109:110], v[137:138], v[109:110]
	v_fma_f64 v[135:136], v[66:67], s[36:37], v[147:148]
	v_add_f64 v[133:134], v[2:3], v[141:142]
	v_mul_f64 v[141:142], v[94:95], s[24:25]
	v_fma_f64 v[137:138], v[48:49], s[18:19], -v[145:146]
	v_add_f64 v[143:144], v[143:144], v[149:150]
	v_add_f64 v[149:150], v[0:1], v[155:156]
	v_fma_f64 v[147:148], v[66:67], s[36:37], -v[147:148]
	v_add_f64 v[153:154], v[2:3], v[153:154]
	v_add_f64 v[157:158], v[2:3], v[157:158]
	;; [unrolled: 1-line block ×3, first 2 shown]
	v_fma_f64 v[155:156], v[60:61], s[36:37], v[102:103]
	v_add_f64 v[2:3], v[2:3], v[98:99]
	v_add_f64 v[0:1], v[0:1], v[100:101]
	v_mul_f64 v[98:99], v[88:89], s[24:25]
	v_fma_f64 v[100:101], v[66:67], s[18:19], -v[96:97]
	v_mul_f64 v[94:95], v[94:95], s[52:53]
	v_add_f64 v[115:116], v[115:116], v[117:118]
	v_fma_f64 v[117:118], v[60:61], s[18:19], v[92:93]
	v_mul_f64 v[88:89], v[88:89], s[52:53]
	v_fma_f64 v[102:103], v[60:61], s[36:37], -v[102:103]
	v_fma_f64 v[66:67], v[66:67], s[18:19], v[96:97]
	v_fma_f64 v[60:61], v[60:61], s[18:19], -v[92:93]
	v_fma_f64 v[145:146], v[48:49], s[18:19], v[145:146]
	v_add_f64 v[133:134], v[135:136], v[133:134]
	v_fma_f64 v[135:136], v[64:65], s[20:21], v[141:142]
	v_add_f64 v[127:128], v[137:138], v[127:128]
	v_mul_f64 v[137:138], v[90:91], s[4:5]
	v_fma_f64 v[141:142], v[64:65], s[20:21], -v[141:142]
	v_mul_f64 v[90:91], v[90:91], s[38:39]
	v_add_f64 v[147:148], v[147:148], v[153:154]
	v_mul_f64 v[153:154], v[84:85], s[4:5]
	v_mul_f64 v[84:85], v[84:85], s[38:39]
	v_add_f64 v[151:152], v[155:156], v[151:152]
	v_add_f64 v[109:110], v[131:132], v[109:110]
	v_mul_f64 v[96:97], v[58:59], s[24:25]
	v_fma_f64 v[155:156], v[56:57], s[20:21], v[98:99]
	v_add_f64 v[2:3], v[100:101], v[2:3]
	v_fma_f64 v[100:101], v[64:65], s[22:23], -v[94:95]
	v_fma_f64 v[98:99], v[56:57], s[20:21], -v[98:99]
	v_add_f64 v[0:1], v[117:118], v[0:1]
	v_fma_f64 v[92:93], v[56:57], s[22:23], v[88:89]
	v_fma_f64 v[64:65], v[64:65], s[22:23], v[94:95]
	v_add_f64 v[66:67], v[66:67], v[157:158]
	v_fma_f64 v[56:57], v[56:57], s[22:23], -v[88:89]
	v_add_f64 v[60:61], v[60:61], v[104:105]
	v_add_f64 v[131:132], v[145:146], v[143:144]
	;; [unrolled: 1-line block ×3, first 2 shown]
	v_fma_f64 v[135:136], v[32:33], s[22:23], v[30:31]
	v_add_f64 v[30:31], v[102:103], v[149:150]
	v_fma_f64 v[117:118], v[54:55], s[0:1], v[137:138]
	v_mul_f64 v[143:144], v[86:87], s[46:47]
	v_add_f64 v[141:142], v[141:142], v[147:148]
	v_fma_f64 v[137:138], v[54:55], s[0:1], -v[137:138]
	v_fma_f64 v[147:148], v[52:53], s[0:1], v[153:154]
	v_fma_f64 v[94:95], v[54:55], s[36:37], -v[90:91]
	v_mul_f64 v[86:87], v[86:87], s[34:35]
	v_fma_f64 v[54:55], v[54:55], s[36:37], v[90:91]
	v_add_f64 v[145:146], v[155:156], v[151:152]
	v_fma_f64 v[151:152], v[52:53], s[0:1], -v[153:154]
	v_add_f64 v[2:3], v[100:101], v[2:3]
	v_mul_f64 v[100:101], v[82:83], s[46:47]
	v_mul_f64 v[82:83], v[82:83], s[34:35]
	v_add_f64 v[0:1], v[92:93], v[0:1]
	v_fma_f64 v[92:93], v[52:53], s[36:37], v[84:85]
	v_add_f64 v[64:65], v[64:65], v[66:67]
	v_fma_f64 v[52:53], v[52:53], s[36:37], -v[84:85]
	v_add_f64 v[56:57], v[56:57], v[60:61]
	v_mul_f64 v[90:91], v[78:79], s[42:43]
	v_mul_f64 v[66:67], v[76:77], s[38:39]
	;; [unrolled: 1-line block ×3, first 2 shown]
	v_add_f64 v[30:31], v[98:99], v[30:31]
	v_mul_f64 v[98:99], v[78:79], s[40:41]
	v_add_f64 v[117:118], v[117:118], v[133:134]
	v_mul_f64 v[78:79], v[78:79], s[24:25]
	v_add_f64 v[137:138], v[137:138], v[141:142]
	v_fma_f64 v[141:142], v[50:51], s[14:15], -v[143:144]
	v_fma_f64 v[143:144], v[50:51], s[14:15], v[143:144]
	v_mul_f64 v[104:105], v[58:59], s[28:29]
	v_fma_f64 v[102:103], v[34:35], s[20:21], v[129:130]
	v_add_f64 v[133:134], v[147:148], v[145:146]
	v_mul_f64 v[147:148], v[80:81], s[42:43]
	v_add_f64 v[2:3], v[94:95], v[2:3]
	v_fma_f64 v[145:146], v[48:49], s[14:15], v[100:101]
	v_fma_f64 v[94:95], v[50:51], s[30:31], -v[86:87]
	v_mul_f64 v[80:81], v[80:81], s[24:25]
	v_add_f64 v[0:1], v[92:93], v[0:1]
	v_fma_f64 v[92:93], v[48:49], s[30:31], v[82:83]
	v_fma_f64 v[100:101], v[48:49], s[14:15], -v[100:101]
	v_fma_f64 v[50:51], v[50:51], s[30:31], v[86:87]
	v_add_f64 v[54:55], v[54:55], v[64:65]
	v_fma_f64 v[48:49], v[48:49], s[30:31], -v[82:83]
	v_add_f64 v[52:53], v[52:53], v[56:57]
	v_add_f64 v[30:31], v[151:152], v[30:31]
	v_fma_f64 v[151:152], v[44:45], s[6:7], v[98:99]
	v_fma_f64 v[86:87], v[44:45], s[30:31], v[90:91]
	v_mul_f64 v[82:83], v[74:75], s[26:27]
	v_fma_f64 v[98:99], v[44:45], s[6:7], -v[98:99]
	v_add_f64 v[137:138], v[141:142], v[137:138]
	v_mul_f64 v[141:142], v[74:75], s[38:39]
	v_mul_f64 v[74:75], v[74:75], s[16:17]
	v_fma_f64 v[64:65], v[42:43], s[36:37], v[66:67]
	v_fma_f64 v[66:67], v[42:43], s[36:37], -v[66:67]
	v_add_f64 v[117:118], v[143:144], v[117:118]
	v_fma_f64 v[90:91], v[44:45], s[30:31], -v[90:91]
	v_add_f64 v[133:134], v[145:146], v[133:134]
	v_mul_f64 v[145:146], v[76:77], s[26:27]
	v_add_f64 v[2:3], v[94:95], v[2:3]
	v_fma_f64 v[94:95], v[46:47], s[30:31], -v[147:148]
	v_fma_f64 v[56:57], v[46:47], s[20:21], -v[80:81]
	v_mul_f64 v[76:77], v[76:77], s[16:17]
	v_add_f64 v[0:1], v[92:93], v[0:1]
	v_fma_f64 v[92:93], v[44:45], s[20:21], v[78:79]
	v_fma_f64 v[147:148], v[46:47], s[30:31], v[147:148]
	;; [unrolled: 1-line block ×3, first 2 shown]
	v_add_f64 v[30:31], v[100:101], v[30:31]
	v_add_f64 v[50:51], v[50:51], v[54:55]
	v_fma_f64 v[44:45], v[44:45], s[20:21], -v[78:79]
	v_add_f64 v[48:49], v[48:49], v[52:53]
	v_add_f64 v[131:132], v[151:152], v[131:132]
	v_mul_f64 v[151:152], v[62:63], s[16:17]
	v_mul_f64 v[100:101], v[62:63], s[8:9]
	v_fma_f64 v[52:53], v[40:41], s[22:23], v[82:83]
	v_mul_f64 v[62:63], v[62:63], s[4:5]
	v_mul_f64 v[78:79], v[58:59], s[4:5]
	;; [unrolled: 1-line block ×3, first 2 shown]
	v_fma_f64 v[143:144], v[40:41], s[36:37], v[141:142]
	v_add_f64 v[86:87], v[86:87], v[133:134]
	v_mul_f64 v[58:59], v[58:59], s[16:17]
	v_add_f64 v[66:67], v[66:67], v[109:110]
	v_add_f64 v[94:95], v[94:95], v[137:138]
	v_fma_f64 v[137:138], v[42:43], s[22:23], -v[145:146]
	v_add_f64 v[2:3], v[56:57], v[2:3]
	v_fma_f64 v[54:55], v[42:43], s[14:15], -v[76:77]
	v_add_f64 v[0:1], v[92:93], v[0:1]
	v_fma_f64 v[56:57], v[40:41], s[14:15], v[74:75]
	v_add_f64 v[92:93], v[98:99], v[127:128]
	v_fma_f64 v[98:99], v[40:41], s[36:37], -v[141:142]
	v_add_f64 v[109:110], v[147:148], v[117:118]
	v_fma_f64 v[117:118], v[42:43], s[22:23], v[145:146]
	v_add_f64 v[30:31], v[90:91], v[30:31]
	v_fma_f64 v[82:83], v[40:41], s[22:23], -v[82:83]
	v_fma_f64 v[42:43], v[42:43], s[14:15], v[76:77]
	v_add_f64 v[46:47], v[46:47], v[50:51]
	v_fma_f64 v[40:41], v[40:41], s[14:15], -v[74:75]
	v_add_f64 v[44:45], v[44:45], v[48:49]
	v_fma_f64 v[74:75], v[32:33], s[0:1], v[78:79]
	v_fma_f64 v[76:77], v[32:33], s[6:7], v[80:81]
	v_add_f64 v[90:91], v[143:144], v[131:132]
	v_add_f64 v[50:51], v[52:53], v[86:87]
	v_fma_f64 v[52:53], v[34:35], s[6:7], -v[100:101]
	v_fma_f64 v[127:128], v[34:35], s[14:15], -v[151:152]
	v_fma_f64 v[86:87], v[32:33], s[14:15], v[58:59]
	v_add_f64 v[48:49], v[137:138], v[94:95]
	v_fma_f64 v[84:85], v[34:35], s[18:19], v[88:89]
	v_add_f64 v[54:55], v[54:55], v[2:3]
	v_fma_f64 v[88:89], v[34:35], s[18:19], -v[88:89]
	v_add_f64 v[0:1], v[56:57], v[0:1]
	v_fma_f64 v[56:57], v[34:35], s[0:1], -v[62:63]
	v_fma_f64 v[94:95], v[32:33], s[18:19], v[104:105]
	v_fma_f64 v[149:150], v[32:33], s[20:21], -v[96:97]
	v_fma_f64 v[129:130], v[34:35], s[20:21], -v[129:130]
	v_fma_f64 v[96:97], v[32:33], s[20:21], v[96:97]
	v_fma_f64 v[60:61], v[32:33], s[18:19], -v[104:105]
	v_add_f64 v[64:65], v[64:65], v[115:116]
	v_add_f64 v[92:93], v[98:99], v[92:93]
	v_fma_f64 v[98:99], v[34:35], s[14:15], v[151:152]
	v_fma_f64 v[58:59], v[32:33], s[14:15], -v[58:59]
	v_add_f64 v[104:105], v[117:118], v[109:110]
	v_add_f64 v[82:83], v[82:83], v[30:31]
	v_fma_f64 v[100:101], v[34:35], s[6:7], v[100:101]
	v_fma_f64 v[80:81], v[32:33], s[6:7], -v[80:81]
	v_fma_f64 v[109:110], v[34:35], s[0:1], v[62:63]
	v_add_f64 v[115:116], v[42:43], v[46:47]
	v_fma_f64 v[78:79], v[32:33], s[0:1], -v[78:79]
	v_add_f64 v[117:118], v[40:41], v[44:45]
	v_add_f64 v[44:45], v[52:53], v[48:49]
	;; [unrolled: 1-line block ×23, first 2 shown]
	v_lshl_add_u32 v36, v70, 8, v106
	ds_write_b128 v36, v[4:7]
	ds_write_b128 v36, v[46:49] offset:16
	ds_write_b128 v36, v[42:45] offset:32
	;; [unrolled: 1-line block ×16, first 2 shown]
.LBB0_21:
	s_or_b32 exec_lo, exec_lo, s33
	v_add_nc_u16 v0, v70, 0x77
	v_and_b32_e32 v1, 0xff, v70
	v_add_nc_u32_e32 v11, 0xee, v70
	v_mov_b32_e32 v3, 0xf0f1
	v_add_nc_u32_e32 v12, 0x165, v70
	v_and_b32_e32 v2, 0xff, v0
	v_mul_lo_u16 v47, 0xf1, v1
	v_add_nc_u32_e32 v13, 0x1dc, v70
	v_mul_u32_u24_sdwa v4, v11, v3 dst_sel:DWORD dst_unused:UNUSED_PAD src0_sel:WORD_0 src1_sel:DWORD
	v_add_nc_u32_e32 v14, 0x253, v70
	v_mul_lo_u16 v1, 0xf1, v2
	v_mul_u32_u24_sdwa v5, v12, v3 dst_sel:DWORD dst_unused:UNUSED_PAD src0_sel:WORD_0 src1_sel:DWORD
	v_add_nc_u32_e32 v15, 0x2ca, v70
	v_lshrrev_b16 v51, 12, v47
	v_lshrrev_b32_e32 v67, 20, v4
	v_lshrrev_b16 v2, 12, v1
	v_mul_u32_u24_sdwa v8, v13, v3 dst_sel:DWORD dst_unused:UNUSED_PAD src0_sel:WORD_0 src1_sel:DWORD
	v_mul_u32_u24_sdwa v9, v14, v3 dst_sel:DWORD dst_unused:UNUSED_PAD src0_sel:WORD_0 src1_sel:DWORD
	v_lshrrev_b32_e32 v71, 20, v5
	v_mul_lo_u16 v6, v51, 17
	v_mul_u32_u24_sdwa v16, v15, v3 dst_sel:DWORD dst_unused:UNUSED_PAD src0_sel:WORD_0 src1_sel:DWORD
	v_mul_lo_u16 v7, v2, 17
	v_mul_lo_u16 v17, v67, 17
	v_lshrrev_b32_e32 v113, 20, v8
	v_lshrrev_b32_e32 v116, 20, v9
	v_mul_lo_u16 v18, v71, 17
	v_mov_b32_e32 v48, 4
	v_sub_nc_u16 v3, v70, v6
	v_lshrrev_b32_e32 v117, 20, v16
	v_sub_nc_u16 v6, v0, v7
	v_sub_nc_u16 v11, v11, v17
	v_mul_lo_u16 v16, v113, 17
	v_sub_nc_u16 v12, v12, v18
	v_mul_lo_u16 v17, v116, 17
	v_lshlrev_b32_sdwa v114, v48, v3 dst_sel:DWORD dst_unused:UNUSED_PAD src0_sel:DWORD src1_sel:BYTE_0
	v_mul_lo_u16 v18, v117, 17
	v_lshlrev_b32_sdwa v115, v48, v6 dst_sel:DWORD dst_unused:UNUSED_PAD src0_sel:DWORD src1_sel:BYTE_0
	v_lshlrev_b32_sdwa v118, v48, v11 dst_sel:DWORD dst_unused:UNUSED_PAD src0_sel:DWORD src1_sel:WORD_0
	v_sub_nc_u16 v16, v13, v16
	v_lshlrev_b32_sdwa v119, v48, v12 dst_sel:DWORD dst_unused:UNUSED_PAD src0_sel:DWORD src1_sel:WORD_0
	v_sub_nc_u16 v17, v14, v17
	s_waitcnt lgkmcnt(0)
	s_barrier
	buffer_gl0_inv
	s_clause 0x1
	global_load_dwordx4 v[3:6], v114, s[12:13]
	global_load_dwordx4 v[7:10], v115, s[12:13]
	v_sub_nc_u16 v19, v15, v18
	global_load_dwordx4 v[11:14], v118, s[12:13]
	v_lshlrev_b32_sdwa v120, v48, v16 dst_sel:DWORD dst_unused:UNUSED_PAD src0_sel:DWORD src1_sel:WORD_0
	v_lshlrev_b32_sdwa v121, v48, v17 dst_sel:DWORD dst_unused:UNUSED_PAD src0_sel:DWORD src1_sel:WORD_0
	global_load_dwordx4 v[15:18], v119, s[12:13]
	v_lshlrev_b32_sdwa v122, v48, v19 dst_sel:DWORD dst_unused:UNUSED_PAD src0_sel:DWORD src1_sel:WORD_0
	s_clause 0x2
	global_load_dwordx4 v[19:22], v120, s[12:13]
	global_load_dwordx4 v[23:26], v121, s[12:13]
	;; [unrolled: 1-line block ×3, first 2 shown]
	ds_read_b128 v[31:34], v106 offset:13328
	ds_read_b128 v[35:38], v106 offset:17136
	;; [unrolled: 1-line block ×8, first 2 shown]
	ds_read_b128 v[78:81], v106
	ds_read_b128 v[82:85], v106 offset:1904
	ds_read_b128 v[86:89], v106 offset:3808
	;; [unrolled: 1-line block ×5, first 2 shown]
	v_lshrrev_b16 v52, 13, v47
	v_mov_b32_e32 v123, 0x220
	v_mov_b32_e32 v47, 6
	s_waitcnt vmcnt(0) lgkmcnt(0)
	s_barrier
	buffer_gl0_inv
	v_mul_u32_u24_sdwa v2, v2, v123 dst_sel:DWORD dst_unused:UNUSED_PAD src0_sel:WORD_0 src1_sel:DWORD
	s_mov_b32 s14, 0x37e14327
	s_mov_b32 s4, 0x36b3c0b5
	;; [unrolled: 1-line block ×4, first 2 shown]
	v_add3_u32 v2, 0, v2, v115
	s_mov_b32 s5, 0x3fac98ee
	s_mov_b32 s21, 0x3fe11646
	;; [unrolled: 1-line block ×16, first 2 shown]
	v_mul_f64 v[49:50], v[33:34], v[5:6]
	v_mul_f64 v[5:6], v[31:32], v[5:6]
	;; [unrolled: 1-line block ×14, first 2 shown]
	v_fma_f64 v[31:32], v[31:32], v[3:4], v[49:50]
	v_fma_f64 v[5:6], v[33:34], v[3:4], -v[5:6]
	v_mul_lo_u16 v3, v52, 34
	v_fma_f64 v[33:34], v[35:36], v[11:12], v[65:66]
	v_fma_f64 v[35:36], v[39:40], v[7:8], v[102:103]
	v_fma_f64 v[9:10], v[41:42], v[7:8], -v[9:10]
	v_fma_f64 v[37:38], v[37:38], v[11:12], -v[13:14]
	v_fma_f64 v[39:40], v[43:44], v[15:16], v[104:105]
	v_fma_f64 v[17:18], v[45:46], v[15:16], -v[17:18]
	v_fma_f64 v[41:42], v[53:54], v[19:20], v[107:108]
	;; [unrolled: 2-line block ×4, first 2 shown]
	v_fma_f64 v[29:30], v[63:64], v[27:28], -v[29:30]
	v_sub_nc_u16 v49, v70, v3
	v_lshrrev_b16 v50, 13, v1
	v_mul_u32_u24_sdwa v53, v51, v123 dst_sel:DWORD dst_unused:UNUSED_PAD src0_sel:WORD_0 src1_sel:DWORD
	v_mul_u32_u24_e32 v54, 0x220, v67
	v_mul_u32_u24_e32 v65, 0x220, v71
	v_mul_u32_u24_sdwa v102, v49, v47 dst_sel:DWORD dst_unused:UNUSED_PAD src0_sel:BYTE_0 src1_sel:DWORD
	v_mul_lo_u16 v1, v50, 34
	v_add_f64 v[3:4], v[78:79], -v[31:32]
	v_add_f64 v[5:6], v[80:81], -v[5:6]
	v_mul_u32_u24_e32 v66, 0x220, v113
	v_add_f64 v[7:8], v[86:87], -v[33:34]
	v_add_f64 v[11:12], v[82:83], -v[35:36]
	;; [unrolled: 1-line block ×12, first 2 shown]
	v_sub_nc_u16 v51, v0, v1
	v_add3_u32 v0, 0, v53, v114
	v_add3_u32 v1, 0, v54, v118
	v_mul_u32_u24_e32 v67, 0x220, v116
	v_mul_u32_u24_e32 v71, 0x220, v117
	v_add3_u32 v65, 0, v65, v119
	v_add3_u32 v66, 0, v66, v120
	v_fma_f64 v[31:32], v[78:79], 2.0, -v[3:4]
	v_fma_f64 v[33:34], v[80:81], 2.0, -v[5:6]
	v_add3_u32 v67, 0, v67, v121
	v_fma_f64 v[35:36], v[86:87], 2.0, -v[7:8]
	v_fma_f64 v[39:40], v[82:83], 2.0, -v[11:12]
	;; [unrolled: 1-line block ×12, first 2 shown]
	v_lshlrev_b32_e32 v74, 4, v102
	v_add3_u32 v71, 0, v71, v122
	ds_write_b128 v0, v[3:6] offset:272
	ds_write_b128 v0, v[31:34]
	ds_write_b128 v2, v[11:14] offset:272
	ds_write_b128 v2, v[39:42]
	ds_write_b128 v1, v[35:38]
	ds_write_b128 v1, v[7:10] offset:272
	ds_write_b128 v65, v[43:46]
	ds_write_b128 v65, v[15:18] offset:272
	;; [unrolled: 2-line block ×5, first 2 shown]
	v_mul_u32_u24_sdwa v4, v51, v47 dst_sel:DWORD dst_unused:UNUSED_PAD src0_sel:BYTE_0 src1_sel:DWORD
	s_waitcnt lgkmcnt(0)
	s_barrier
	buffer_gl0_inv
	s_clause 0x3
	global_load_dwordx4 v[12:15], v74, s[12:13] offset:272
	global_load_dwordx4 v[8:11], v74, s[12:13] offset:288
	;; [unrolled: 1-line block ×4, first 2 shown]
	v_lshlrev_b32_e32 v44, 4, v4
	s_clause 0x7
	global_load_dwordx4 v[20:23], v74, s[12:13] offset:336
	global_load_dwordx4 v[4:7], v74, s[12:13] offset:320
	;; [unrolled: 1-line block ×8, first 2 shown]
	v_mul_u32_u24_e32 v53, 6, v70
	v_mov_b32_e32 v71, 0xee0
	v_lshlrev_b32_e32 v53, 4, v53
	v_mul_u32_u24_sdwa v137, v52, v71 dst_sel:DWORD dst_unused:UNUSED_PAD src0_sel:WORD_0 src1_sel:DWORD
	v_mul_u32_u24_sdwa v71, v50, v71 dst_sel:DWORD dst_unused:UNUSED_PAD src0_sel:WORD_0 src1_sel:DWORD
	v_add_co_u32 v135, s0, s12, v53
	ds_read_b128 v[52:55], v106 offset:3808
	ds_read_b128 v[56:59], v106 offset:7616
	ds_read_b128 v[60:63], v106 offset:11424
	ds_read_b128 v[64:67], v106 offset:22848
	ds_read_b128 v[74:77], v106 offset:19040
	ds_read_b128 v[78:81], v106 offset:15232
	ds_read_b128 v[82:85], v106 offset:5712
	ds_read_b128 v[86:89], v106 offset:9520
	ds_read_b128 v[90:93], v106 offset:13328
	ds_read_b128 v[94:97], v106 offset:17136
	ds_read_b128 v[98:101], v106 offset:24752
	ds_read_b128 v[102:105], v106 offset:20944
	v_add_co_ci_u32_e64 v136, null, s13, 0, s0
	v_add_co_u32 v107, s0, 0xdd0, v135
	v_add_co_ci_u32_e64 v108, s0, 0, v136, s0
	v_add_co_u32 v109, s0, 0x800, v135
	v_add_co_ci_u32_e64 v110, s0, 0, v136, s0
	s_waitcnt vmcnt(7) lgkmcnt(7)
	v_mul_f64 v[119:120], v[76:77], v[22:23]
	v_mul_f64 v[111:112], v[54:55], v[14:15]
	;; [unrolled: 1-line block ×10, first 2 shown]
	s_waitcnt vmcnt(6) lgkmcnt(6)
	v_mul_f64 v[121:122], v[80:81], v[6:7]
	v_mul_f64 v[6:7], v[78:79], v[6:7]
	s_waitcnt vmcnt(5) lgkmcnt(5)
	v_mul_f64 v[123:124], v[84:85], v[34:35]
	v_mul_f64 v[34:35], v[82:83], v[34:35]
	s_waitcnt vmcnt(4) lgkmcnt(4)
	v_mul_f64 v[125:126], v[88:89], v[30:31]
	v_mul_f64 v[30:31], v[86:87], v[30:31]
	s_waitcnt vmcnt(2) lgkmcnt(1)
	v_mul_f64 v[129:130], v[100:101], v[42:43]
	v_mul_f64 v[42:43], v[98:99], v[42:43]
	s_waitcnt vmcnt(0) lgkmcnt(0)
	v_mul_f64 v[133:134], v[104:105], v[46:47]
	v_mul_f64 v[46:47], v[102:103], v[46:47]
	v_mul_f64 v[127:128], v[92:93], v[26:27]
	v_mul_f64 v[26:27], v[90:91], v[26:27]
	v_mul_f64 v[131:132], v[96:97], v[38:39]
	v_mul_f64 v[38:39], v[94:95], v[38:39]
	v_fma_f64 v[52:53], v[52:53], v[12:13], v[111:112]
	v_fma_f64 v[12:13], v[54:55], v[12:13], -v[14:15]
	v_fma_f64 v[14:15], v[56:57], v[8:9], v[113:114]
	v_fma_f64 v[8:9], v[58:59], v[8:9], -v[10:11]
	;; [unrolled: 2-line block ×12, first 2 shown]
	ds_read_b128 v[0:3], v106
	ds_read_b128 v[4:7], v106 offset:1904
	v_lshlrev_b32_sdwa v98, v48, v49 dst_sel:DWORD dst_unused:UNUSED_PAD src0_sel:DWORD src1_sel:BYTE_0
	v_add_f64 v[38:39], v[52:53], v[10:11]
	v_add_f64 v[62:63], v[12:13], v[16:17]
	;; [unrolled: 1-line block ×4, first 2 shown]
	v_add_f64 v[10:11], v[52:53], -v[10:11]
	v_add_f64 v[12:13], v[12:13], -v[16:17]
	v_add_f64 v[16:17], v[22:23], v[56:57]
	v_add_f64 v[52:53], v[54:55], v[58:59]
	v_add_f64 v[14:15], v[14:15], -v[18:19]
	v_add_f64 v[8:9], v[8:9], -v[20:21]
	;; [unrolled: 1-line block ×4, first 2 shown]
	v_add_f64 v[22:23], v[60:61], v[34:35]
	v_add_f64 v[54:55], v[32:33], v[40:41]
	v_add_f64 v[32:33], v[32:33], -v[40:41]
	v_add_f64 v[40:41], v[42:43], v[30:31]
	v_add_f64 v[56:57], v[28:29], v[44:45]
	v_add_f64 v[30:31], v[42:43], -v[30:31]
	v_add_f64 v[28:29], v[28:29], -v[44:45]
	v_add_f64 v[42:43], v[46:47], v[26:27]
	v_add_f64 v[44:45], v[24:25], v[36:37]
	v_add_f64 v[26:27], v[26:27], -v[46:47]
	v_add_f64 v[24:25], v[36:37], -v[24:25]
	;; [unrolled: 1-line block ×3, first 2 shown]
	v_add_f64 v[36:37], v[64:65], v[38:39]
	v_add_f64 v[46:47], v[66:67], v[62:63]
	v_add_f64 v[58:59], v[64:65], -v[38:39]
	v_add_f64 v[60:61], v[66:67], -v[62:63]
	;; [unrolled: 1-line block ×6, first 2 shown]
	v_add_f64 v[74:75], v[18:19], v[14:15]
	v_add_f64 v[76:77], v[20:21], v[8:9]
	v_add_f64 v[78:79], v[18:19], -v[14:15]
	v_add_f64 v[80:81], v[20:21], -v[8:9]
	;; [unrolled: 1-line block ×3, first 2 shown]
	v_add_f64 v[82:83], v[40:41], v[22:23]
	v_add_f64 v[84:85], v[56:57], v[54:55]
	v_add_f64 v[8:9], v[8:9], -v[12:13]
	v_add_f64 v[86:87], v[40:41], -v[22:23]
	v_add_f64 v[88:89], v[56:57], -v[54:55]
	v_add_f64 v[22:23], v[22:23], -v[42:43]
	v_add_f64 v[94:95], v[26:27], -v[30:31]
	v_add_f64 v[54:55], v[54:55], -v[44:45]
	v_add_f64 v[40:41], v[42:43], -v[40:41]
	v_add_f64 v[16:17], v[16:17], v[36:37]
	v_add_f64 v[36:37], v[52:53], v[46:47]
	v_add_f64 v[56:57], v[44:45], -v[56:57]
	v_add_f64 v[96:97], v[24:25], -v[28:29]
	v_add_f64 v[90:91], v[26:27], v[30:31]
	v_add_f64 v[92:93], v[24:25], v[28:29]
	v_add_f64 v[30:31], v[30:31], -v[34:35]
	v_add_f64 v[28:29], v[28:29], -v[32:33]
	;; [unrolled: 1-line block ×4, first 2 shown]
	v_add_f64 v[10:11], v[74:75], v[10:11]
	v_add_f64 v[12:13], v[76:77], v[12:13]
	v_mul_f64 v[38:39], v[38:39], s[14:15]
	v_add_f64 v[42:43], v[42:43], v[82:83]
	v_add_f64 v[44:45], v[44:45], v[84:85]
	v_mul_f64 v[46:47], v[62:63], s[14:15]
	v_mul_f64 v[52:53], v[64:65], s[4:5]
	;; [unrolled: 1-line block ×7, first 2 shown]
	s_waitcnt lgkmcnt(1)
	v_add_f64 v[0:1], v[0:1], v[16:17]
	v_add_f64 v[2:3], v[2:3], v[36:37]
	v_mul_f64 v[80:81], v[8:9], s[6:7]
	v_add_f64 v[26:27], v[34:35], -v[26:27]
	v_add_f64 v[24:25], v[32:33], -v[24:25]
	v_mul_f64 v[22:23], v[22:23], s[14:15]
	v_mul_f64 v[54:55], v[54:55], s[14:15]
	;; [unrolled: 1-line block ×5, first 2 shown]
	v_add_f64 v[34:35], v[90:91], v[34:35]
	v_add_f64 v[32:33], v[92:93], v[32:33]
	v_mul_f64 v[90:91], v[40:41], s[4:5]
	s_waitcnt lgkmcnt(0)
	v_add_f64 v[4:5], v[4:5], v[42:43]
	v_add_f64 v[6:7], v[6:7], v[44:45]
	v_mul_f64 v[92:93], v[56:57], s[4:5]
	v_fma_f64 v[64:65], v[64:65], s[4:5], v[38:39]
	v_fma_f64 v[66:67], v[66:67], s[4:5], v[46:47]
	v_fma_f64 v[52:53], v[58:59], s[18:19], -v[52:53]
	v_fma_f64 v[62:63], v[60:61], s[18:19], -v[62:63]
	;; [unrolled: 1-line block ×4, first 2 shown]
	v_fma_f64 v[58:59], v[18:19], s[26:27], v[74:75]
	v_fma_f64 v[60:61], v[20:21], s[26:27], v[76:77]
	v_fma_f64 v[30:31], v[30:31], s[6:7], -v[82:83]
	v_fma_f64 v[16:17], v[16:17], s[8:9], v[0:1]
	v_fma_f64 v[36:37], v[36:37], s[8:9], v[2:3]
	v_fma_f64 v[18:19], v[18:19], s[24:25], -v[78:79]
	v_fma_f64 v[20:21], v[20:21], s[24:25], -v[80:81]
	;; [unrolled: 1-line block ×4, first 2 shown]
	v_fma_f64 v[74:75], v[26:27], s[26:27], v[82:83]
	v_fma_f64 v[76:77], v[24:25], s[26:27], v[84:85]
	;; [unrolled: 1-line block ×6, first 2 shown]
	v_fma_f64 v[26:27], v[26:27], s[24:25], -v[94:95]
	v_fma_f64 v[24:25], v[24:25], s[24:25], -v[96:97]
	;; [unrolled: 1-line block ×7, first 2 shown]
	v_fma_f64 v[58:59], v[10:11], s[22:23], v[58:59]
	v_fma_f64 v[60:61], v[12:13], s[22:23], v[60:61]
	;; [unrolled: 1-line block ×3, first 2 shown]
	v_add_f64 v[30:31], v[64:65], v[16:17]
	v_add_f64 v[64:65], v[66:67], v[36:37]
	v_fma_f64 v[86:87], v[10:11], s[22:23], v[18:19]
	v_fma_f64 v[88:89], v[12:13], s[22:23], v[20:21]
	v_add_f64 v[38:39], v[38:39], v[16:17]
	v_add_f64 v[46:47], v[46:47], v[36:37]
	v_fma_f64 v[82:83], v[10:11], s[22:23], v[14:15]
	v_fma_f64 v[84:85], v[12:13], s[22:23], v[8:9]
	;; [unrolled: 4-line block ×4, first 2 shown]
	v_add_f64 v[94:95], v[22:23], v[42:43]
	v_add_f64 v[54:55], v[54:55], v[44:45]
	v_fma_f64 v[52:53], v[32:33], s[22:23], v[28:29]
	v_add_f64 v[78:79], v[78:79], v[42:43]
	v_add_f64 v[80:81], v[80:81], v[44:45]
	v_lshlrev_b32_sdwa v99, v48, v51 dst_sel:DWORD dst_unused:UNUSED_PAD src0_sel:DWORD src1_sel:BYTE_0
	v_add_f64 v[8:9], v[60:61], v[30:31]
	v_add_f64 v[10:11], v[64:65], -v[58:59]
	v_add_f64 v[28:29], v[30:31], -v[60:61]
	v_add_f64 v[30:31], v[58:59], v[64:65]
	v_add_f64 v[12:13], v[88:89], v[38:39]
	v_add_f64 v[14:15], v[46:47], -v[86:87]
	v_add_f64 v[24:25], v[38:39], -v[88:89]
	v_add_f64 v[26:27], v[86:87], v[46:47]
	v_add_f64 v[16:17], v[20:21], -v[84:85]
	v_add_f64 v[18:19], v[82:83], v[36:37]
	v_add_f64 v[20:21], v[84:85], v[20:21]
	v_add_f64 v[22:23], v[36:37], -v[82:83]
	v_add_f64 v[32:33], v[76:77], v[92:93]
	v_add_f64 v[34:35], v[56:57], -v[74:75]
	v_add_co_u32 v96, s0, 0xe10, v135
	v_add_f64 v[36:37], v[66:67], v[94:95]
	v_add_f64 v[38:39], v[54:55], -v[62:63]
	v_add_f64 v[48:49], v[94:95], -v[66:67]
	v_add_f64 v[40:41], v[78:79], -v[52:53]
	v_add_f64 v[42:43], v[90:91], v[80:81]
	v_add_f64 v[44:45], v[52:53], v[78:79]
	v_add_f64 v[46:47], v[80:81], -v[90:91]
	v_add_f64 v[50:51], v[62:63], v[54:55]
	v_add_f64 v[52:53], v[92:93], -v[76:77]
	v_add_f64 v[54:55], v[74:75], v[56:57]
	v_add3_u32 v58, 0, v137, v98
	v_add_co_ci_u32_e64 v97, s0, 0, v136, s0
	v_add_co_u32 v56, s0, 0x3800, v135
	v_add_co_ci_u32_e64 v57, s0, 0, v136, s0
	v_add3_u32 v59, 0, v71, v99
	s_barrier
	buffer_gl0_inv
	ds_write_b128 v58, v[0:3]
	ds_write_b128 v58, v[8:11] offset:544
	ds_write_b128 v58, v[12:15] offset:1088
	;; [unrolled: 1-line block ×6, first 2 shown]
	ds_write_b128 v59, v[4:7]
	ds_write_b128 v59, v[32:35] offset:544
	ds_write_b128 v59, v[36:39] offset:1088
	;; [unrolled: 1-line block ×6, first 2 shown]
	v_add_co_u32 v40, s0, 0x3a70, v135
	s_waitcnt lgkmcnt(0)
	s_barrier
	buffer_gl0_inv
	s_clause 0x4
	global_load_dwordx4 v[0:3], v[109:110], off offset:1488
	global_load_dwordx4 v[4:7], v[107:108], off offset:32
	;; [unrolled: 1-line block ×5, first 2 shown]
	v_add_co_ci_u32_e64 v41, s0, 0, v136, s0
	v_add_co_u32 v36, s0, 0x3ab0, v135
	v_add_co_ci_u32_e64 v37, s0, 0, v136, s0
	s_clause 0x6
	global_load_dwordx4 v[20:23], v[107:108], off offset:48
	global_load_dwordx4 v[24:27], v[56:57], off offset:624
	;; [unrolled: 1-line block ×7, first 2 shown]
	ds_read_b128 v[48:51], v106 offset:3808
	ds_read_b128 v[52:55], v106 offset:7616
	;; [unrolled: 1-line block ×12, first 2 shown]
	s_waitcnt vmcnt(11) lgkmcnt(11)
	v_mul_f64 v[102:103], v[50:51], v[2:3]
	v_mul_f64 v[2:3], v[48:49], v[2:3]
	s_waitcnt vmcnt(9) lgkmcnt(10)
	v_mul_f64 v[104:105], v[54:55], v[10:11]
	v_mul_f64 v[10:11], v[52:53], v[10:11]
	;; [unrolled: 3-line block ×3, first 2 shown]
	s_waitcnt lgkmcnt(7)
	v_mul_f64 v[111:112], v[66:67], v[14:15]
	v_mul_f64 v[14:15], v[64:65], v[14:15]
	;; [unrolled: 1-line block ×4, first 2 shown]
	s_waitcnt vmcnt(6) lgkmcnt(6)
	v_mul_f64 v[113:114], v[76:77], v[22:23]
	v_mul_f64 v[22:23], v[74:75], v[22:23]
	s_waitcnt vmcnt(5) lgkmcnt(5)
	v_mul_f64 v[115:116], v[80:81], v[26:27]
	v_mul_f64 v[26:27], v[78:79], v[26:27]
	;; [unrolled: 3-line block ×5, first 2 shown]
	v_mul_f64 v[119:120], v[88:89], v[34:35]
	v_mul_f64 v[34:35], v[86:87], v[34:35]
	;; [unrolled: 1-line block ×4, first 2 shown]
	v_fma_f64 v[48:49], v[48:49], v[0:1], v[102:103]
	v_fma_f64 v[50:51], v[50:51], v[0:1], -v[2:3]
	v_fma_f64 v[52:53], v[52:53], v[8:9], v[104:105]
	v_fma_f64 v[8:9], v[54:55], v[8:9], -v[10:11]
	;; [unrolled: 2-line block ×12, first 2 shown]
	ds_read_b128 v[0:3], v106
	ds_read_b128 v[4:7], v106 offset:1904
	s_waitcnt lgkmcnt(0)
	v_add_f64 v[42:43], v[48:49], v[10:11]
	v_add_f64 v[58:59], v[50:51], v[16:17]
	;; [unrolled: 1-line block ×4, first 2 shown]
	v_add_f64 v[10:11], v[48:49], -v[10:11]
	v_add_f64 v[16:17], v[50:51], -v[16:17]
	v_add_f64 v[48:49], v[14:15], v[56:57]
	v_add_f64 v[50:51], v[54:55], v[20:21]
	v_add_f64 v[18:19], v[52:53], -v[18:19]
	v_add_f64 v[8:9], v[8:9], -v[12:13]
	;; [unrolled: 1-line block ×4, first 2 shown]
	v_add_f64 v[20:21], v[22:23], v[26:27]
	v_add_f64 v[52:53], v[24:25], v[36:37]
	v_add_f64 v[22:23], v[22:23], -v[26:27]
	v_add_f64 v[24:25], v[24:25], -v[36:37]
	v_add_f64 v[26:27], v[38:39], v[30:31]
	v_add_f64 v[36:37], v[28:29], v[44:45]
	v_add_f64 v[30:31], v[38:39], -v[30:31]
	v_add_f64 v[28:29], v[28:29], -v[44:45]
	v_add_f64 v[38:39], v[46:47], v[34:35]
	v_add_f64 v[44:45], v[32:33], v[40:41]
	v_add_f64 v[34:35], v[34:35], -v[46:47]
	v_add_f64 v[32:33], v[40:41], -v[32:33]
	v_add_f64 v[40:41], v[60:61], v[42:43]
	v_add_f64 v[46:47], v[62:63], v[58:59]
	v_add_f64 v[54:55], v[60:61], -v[42:43]
	v_add_f64 v[56:57], v[62:63], -v[58:59]
	v_add_f64 v[42:43], v[42:43], -v[48:49]
	v_add_f64 v[58:59], v[58:59], -v[50:51]
	;; [unrolled: 1-line block ×4, first 2 shown]
	v_add_f64 v[64:65], v[12:13], v[18:19]
	v_add_f64 v[66:67], v[14:15], v[8:9]
	v_add_f64 v[74:75], v[12:13], -v[18:19]
	v_add_f64 v[76:77], v[14:15], -v[8:9]
	;; [unrolled: 1-line block ×4, first 2 shown]
	v_add_f64 v[78:79], v[26:27], v[20:21]
	v_add_f64 v[80:81], v[36:37], v[52:53]
	v_add_f64 v[82:83], v[26:27], -v[20:21]
	v_add_f64 v[84:85], v[36:37], -v[52:53]
	;; [unrolled: 1-line block ×6, first 2 shown]
	v_add_f64 v[40:41], v[48:49], v[40:41]
	v_add_f64 v[46:47], v[50:51], v[46:47]
	;; [unrolled: 1-line block ×4, first 2 shown]
	v_add_f64 v[90:91], v[34:35], -v[30:31]
	v_add_f64 v[92:93], v[32:33], -v[28:29]
	;; [unrolled: 1-line block ×6, first 2 shown]
	v_add_f64 v[10:11], v[64:65], v[10:11]
	v_add_f64 v[16:17], v[66:67], v[16:17]
	v_mul_f64 v[42:43], v[42:43], s[14:15]
	v_mul_f64 v[48:49], v[58:59], s[14:15]
	v_add_f64 v[38:39], v[38:39], v[78:79]
	v_add_f64 v[44:45], v[44:45], v[80:81]
	v_mul_f64 v[50:51], v[60:61], s[4:5]
	v_mul_f64 v[58:59], v[62:63], s[4:5]
	;; [unrolled: 1-line block ×6, first 2 shown]
	v_add_f64 v[0:1], v[0:1], v[40:41]
	v_add_f64 v[2:3], v[2:3], v[46:47]
	v_add_f64 v[34:35], v[22:23], -v[34:35]
	v_add_f64 v[32:33], v[24:25], -v[32:33]
	v_add_f64 v[22:23], v[86:87], v[22:23]
	v_add_f64 v[24:25], v[88:89], v[24:25]
	v_mul_f64 v[20:21], v[20:21], s[14:15]
	v_mul_f64 v[52:53], v[52:53], s[14:15]
	;; [unrolled: 1-line block ×8, first 2 shown]
	v_add_f64 v[4:5], v[4:5], v[38:39]
	v_add_f64 v[6:7], v[6:7], v[44:45]
	v_fma_f64 v[60:61], v[60:61], s[4:5], v[42:43]
	v_fma_f64 v[62:63], v[62:63], s[4:5], v[48:49]
	v_fma_f64 v[50:51], v[54:55], s[18:19], -v[50:51]
	v_fma_f64 v[58:59], v[56:57], s[18:19], -v[58:59]
	;; [unrolled: 1-line block ×4, first 2 shown]
	v_fma_f64 v[54:55], v[12:13], s[26:27], v[64:65]
	v_fma_f64 v[56:57], v[14:15], s[26:27], v[66:67]
	;; [unrolled: 1-line block ×4, first 2 shown]
	v_fma_f64 v[12:13], v[12:13], s[24:25], -v[74:75]
	v_fma_f64 v[14:15], v[14:15], s[24:25], -v[76:77]
	;; [unrolled: 1-line block ×4, first 2 shown]
	v_fma_f64 v[26:27], v[26:27], s[4:5], v[20:21]
	v_fma_f64 v[36:37], v[36:37], s[4:5], v[52:53]
	;; [unrolled: 1-line block ×4, first 2 shown]
	v_fma_f64 v[34:35], v[34:35], s[24:25], -v[90:91]
	v_fma_f64 v[32:33], v[32:33], s[24:25], -v[92:93]
	v_fma_f64 v[38:39], v[38:39], s[8:9], v[4:5]
	v_fma_f64 v[44:45], v[44:45], s[8:9], v[6:7]
	v_fma_f64 v[20:21], v[82:83], s[16:17], -v[20:21]
	v_fma_f64 v[52:53], v[84:85], s[16:17], -v[52:53]
	v_fma_f64 v[64:65], v[82:83], s[18:19], -v[78:79]
	v_fma_f64 v[66:67], v[84:85], s[18:19], -v[80:81]
	v_fma_f64 v[30:31], v[30:31], s[6:7], -v[86:87]
	v_fma_f64 v[28:29], v[28:29], s[6:7], -v[88:89]
	v_fma_f64 v[54:55], v[10:11], s[22:23], v[54:55]
	v_fma_f64 v[56:57], v[16:17], s[22:23], v[56:57]
	v_add_f64 v[60:61], v[60:61], v[40:41]
	v_add_f64 v[62:63], v[62:63], v[46:47]
	v_fma_f64 v[82:83], v[10:11], s[22:23], v[12:13]
	v_fma_f64 v[84:85], v[16:17], s[22:23], v[14:15]
	v_add_f64 v[42:43], v[42:43], v[40:41]
	v_add_f64 v[48:49], v[48:49], v[46:47]
	;; [unrolled: 4-line block ×6, first 2 shown]
	v_add_f64 v[8:9], v[56:57], v[60:61]
	v_add_f64 v[10:11], v[62:63], -v[54:55]
	v_add_f64 v[28:29], v[60:61], -v[56:57]
	v_add_f64 v[30:31], v[54:55], v[62:63]
	v_add_f64 v[12:13], v[84:85], v[42:43]
	v_add_f64 v[14:15], v[48:49], -v[82:83]
	v_add_f64 v[24:25], v[42:43], -v[84:85]
	v_add_f64 v[26:27], v[82:83], v[48:49]
	v_add_f64 v[16:17], v[40:41], -v[80:81]
	v_add_f64 v[18:19], v[78:79], v[46:47]
	v_add_f64 v[20:21], v[80:81], v[40:41]
	v_add_f64 v[22:23], v[46:47], -v[78:79]
	v_add_f64 v[32:33], v[74:75], v[90:91]
	v_add_f64 v[34:35], v[92:93], -v[58:59]
	v_add_f64 v[54:55], v[58:59], v[92:93]
	s_barrier
	v_add_f64 v[36:37], v[88:89], v[94:95]
	v_add_f64 v[38:39], v[52:53], -v[86:87]
	v_add_f64 v[48:49], v[94:95], -v[88:89]
	buffer_gl0_inv
	v_add_f64 v[40:41], v[64:65], -v[76:77]
	v_add_f64 v[42:43], v[50:51], v[66:67]
	v_add_f64 v[44:45], v[76:77], v[64:65]
	v_add_f64 v[46:47], v[66:67], -v[50:51]
	v_add_f64 v[50:51], v[86:87], v[52:53]
	v_add_f64 v[52:53], v[90:91], -v[74:75]
	ds_write_b128 v106, v[0:3]
	ds_write_b128 v106, v[4:7] offset:1904
	ds_write_b128 v106, v[8:11] offset:3808
	;; [unrolled: 1-line block ×13, first 2 shown]
	s_waitcnt lgkmcnt(0)
	s_barrier
	buffer_gl0_inv
	s_and_saveexec_b32 s0, vcc_lo
	s_cbranch_execz .LBB0_23
; %bb.22:
	v_mul_lo_u32 v2, s3, v72
	v_mul_lo_u32 v3, s2, v73
	v_mad_u64_u32 v[0:1], null, s2, v72, 0
	v_mov_b32_e32 v71, 0
	v_lshl_add_u32 v30, v70, 4, 0
	v_lshlrev_b64 v[12:13], 4, v[68:69]
	v_add_nc_u32_e32 v14, 0x77, v70
	v_add_nc_u32_e32 v16, 0xee, v70
	v_mov_b32_e32 v15, v71
	v_add3_u32 v1, v1, v3, v2
	v_lshlrev_b64 v[18:19], 4, v[70:71]
	v_mov_b32_e32 v17, v71
	v_add_nc_u32_e32 v22, 0x165, v70
	v_mov_b32_e32 v23, v71
	v_lshlrev_b64 v[8:9], 4, v[0:1]
	ds_read_b128 v[0:3], v30
	ds_read_b128 v[4:7], v30 offset:1904
	v_lshlrev_b64 v[16:17], 4, v[16:17]
	v_add_nc_u32_e32 v28, 0x3b8, v70
	v_mov_b32_e32 v29, v71
	v_add_co_u32 v20, vcc_lo, s10, v8
	v_add_co_ci_u32_e32 v21, vcc_lo, s11, v9, vcc_lo
	ds_read_b128 v[8:11], v30 offset:3808
	v_add_co_u32 v31, vcc_lo, v20, v12
	v_add_co_ci_u32_e32 v32, vcc_lo, v21, v13, vcc_lo
	v_lshlrev_b64 v[12:13], 4, v[14:15]
	v_add_co_u32 v18, vcc_lo, v31, v18
	v_add_co_ci_u32_e32 v19, vcc_lo, v32, v19, vcc_lo
	v_add_co_u32 v20, vcc_lo, v31, v12
	v_add_co_ci_u32_e32 v21, vcc_lo, v32, v13, vcc_lo
	ds_read_b128 v[12:15], v30 offset:5712
	s_waitcnt lgkmcnt(3)
	global_store_dwordx4 v[18:19], v[0:3], off
	s_waitcnt lgkmcnt(2)
	global_store_dwordx4 v[20:21], v[4:7], off
	v_lshlrev_b64 v[0:1], 4, v[22:23]
	v_add_co_u32 v2, vcc_lo, v31, v16
	v_add_co_ci_u32_e32 v3, vcc_lo, v32, v17, vcc_lo
	v_add_nc_u32_e32 v4, 0x1dc, v70
	v_add_co_u32 v0, vcc_lo, v31, v0
	v_add_co_ci_u32_e32 v1, vcc_lo, v32, v1, vcc_lo
	v_mov_b32_e32 v5, v71
	s_waitcnt lgkmcnt(1)
	global_store_dwordx4 v[2:3], v[8:11], off
	v_add_nc_u32_e32 v8, 0x253, v70
	v_mov_b32_e32 v9, v71
	v_add_nc_u32_e32 v16, 0x2ca, v70
	v_mov_b32_e32 v17, v71
	s_waitcnt lgkmcnt(0)
	global_store_dwordx4 v[0:1], v[12:15], off
	v_lshlrev_b64 v[12:13], 4, v[4:5]
	ds_read_b128 v[0:3], v30 offset:7616
	ds_read_b128 v[4:7], v30 offset:9520
	v_lshlrev_b64 v[14:15], 4, v[8:9]
	ds_read_b128 v[8:11], v30 offset:11424
	v_add_co_u32 v20, vcc_lo, v31, v12
	v_add_co_ci_u32_e32 v21, vcc_lo, v32, v13, vcc_lo
	v_lshlrev_b64 v[12:13], 4, v[16:17]
	v_add_nc_u32_e32 v16, 0x341, v70
	v_add_co_u32 v22, vcc_lo, v31, v14
	v_add_co_ci_u32_e32 v23, vcc_lo, v32, v15, vcc_lo
	v_lshlrev_b64 v[26:27], 4, v[16:17]
	ds_read_b128 v[16:19], v30 offset:15232
	v_add_co_u32 v24, vcc_lo, v31, v12
	v_add_co_ci_u32_e32 v25, vcc_lo, v32, v13, vcc_lo
	ds_read_b128 v[12:15], v30 offset:13328
	s_waitcnt lgkmcnt(4)
	global_store_dwordx4 v[20:21], v[0:3], off
	s_waitcnt lgkmcnt(3)
	global_store_dwordx4 v[22:23], v[4:7], off
	;; [unrolled: 2-line block ×3, first 2 shown]
	v_lshlrev_b64 v[0:1], 4, v[28:29]
	v_add_co_u32 v2, vcc_lo, v31, v26
	v_add_co_ci_u32_e32 v3, vcc_lo, v32, v27, vcc_lo
	v_add_nc_u32_e32 v4, 0x42f, v70
	v_mov_b32_e32 v5, v71
	v_add_co_u32 v6, vcc_lo, v31, v0
	v_add_co_ci_u32_e32 v7, vcc_lo, v32, v1, vcc_lo
	v_add_nc_u32_e32 v8, 0x4a6, v70
	v_mov_b32_e32 v9, v71
	v_lshlrev_b64 v[4:5], 4, v[4:5]
	s_waitcnt lgkmcnt(1)
	global_store_dwordx4 v[6:7], v[16:19], off
	v_add_nc_u32_e32 v24, 0x594, v70
	v_mov_b32_e32 v25, v71
	v_lshlrev_b64 v[6:7], 4, v[8:9]
	s_waitcnt lgkmcnt(0)
	global_store_dwordx4 v[2:3], v[12:15], off
	v_add_co_u32 v20, vcc_lo, v31, v4
	v_add_nc_u32_e32 v12, 0x51d, v70
	v_mov_b32_e32 v13, v71
	v_add_co_ci_u32_e32 v21, vcc_lo, v32, v5, vcc_lo
	v_add_co_u32 v22, vcc_lo, v31, v6
	ds_read_b128 v[0:3], v30 offset:17136
	v_add_co_ci_u32_e32 v23, vcc_lo, v32, v7, vcc_lo
	ds_read_b128 v[4:7], v30 offset:19040
	ds_read_b128 v[8:11], v30 offset:20944
	v_lshlrev_b64 v[26:27], 4, v[12:13]
	ds_read_b128 v[12:15], v30 offset:22848
	ds_read_b128 v[16:19], v30 offset:24752
	v_add_nc_u32_e32 v70, 0x60b, v70
	v_lshlrev_b64 v[24:25], 4, v[24:25]
	v_add_co_u32 v26, vcc_lo, v31, v26
	v_lshlrev_b64 v[28:29], 4, v[70:71]
	v_add_co_ci_u32_e32 v27, vcc_lo, v32, v27, vcc_lo
	v_add_co_u32 v24, vcc_lo, v31, v24
	v_add_co_ci_u32_e32 v25, vcc_lo, v32, v25, vcc_lo
	v_add_co_u32 v28, vcc_lo, v31, v28
	v_add_co_ci_u32_e32 v29, vcc_lo, v32, v29, vcc_lo
	s_waitcnt lgkmcnt(4)
	global_store_dwordx4 v[20:21], v[0:3], off
	s_waitcnt lgkmcnt(3)
	global_store_dwordx4 v[22:23], v[4:7], off
	;; [unrolled: 2-line block ×5, first 2 shown]
.LBB0_23:
	s_endpgm
	.section	.rodata,"a",@progbits
	.p2align	6, 0x0
	.amdhsa_kernel fft_rtc_back_len1666_factors_17_2_7_7_wgs_119_tpt_119_halfLds_dp_op_CI_CI_unitstride_sbrr_C2R_dirReg
		.amdhsa_group_segment_fixed_size 0
		.amdhsa_private_segment_fixed_size 0
		.amdhsa_kernarg_size 104
		.amdhsa_user_sgpr_count 6
		.amdhsa_user_sgpr_private_segment_buffer 1
		.amdhsa_user_sgpr_dispatch_ptr 0
		.amdhsa_user_sgpr_queue_ptr 0
		.amdhsa_user_sgpr_kernarg_segment_ptr 1
		.amdhsa_user_sgpr_dispatch_id 0
		.amdhsa_user_sgpr_flat_scratch_init 0
		.amdhsa_user_sgpr_private_segment_size 0
		.amdhsa_wavefront_size32 1
		.amdhsa_uses_dynamic_stack 0
		.amdhsa_system_sgpr_private_segment_wavefront_offset 0
		.amdhsa_system_sgpr_workgroup_id_x 1
		.amdhsa_system_sgpr_workgroup_id_y 0
		.amdhsa_system_sgpr_workgroup_id_z 0
		.amdhsa_system_sgpr_workgroup_info 0
		.amdhsa_system_vgpr_workitem_id 0
		.amdhsa_next_free_vgpr 165
		.amdhsa_next_free_sgpr 54
		.amdhsa_reserve_vcc 1
		.amdhsa_reserve_flat_scratch 0
		.amdhsa_float_round_mode_32 0
		.amdhsa_float_round_mode_16_64 0
		.amdhsa_float_denorm_mode_32 3
		.amdhsa_float_denorm_mode_16_64 3
		.amdhsa_dx10_clamp 1
		.amdhsa_ieee_mode 1
		.amdhsa_fp16_overflow 0
		.amdhsa_workgroup_processor_mode 1
		.amdhsa_memory_ordered 1
		.amdhsa_forward_progress 0
		.amdhsa_shared_vgpr_count 0
		.amdhsa_exception_fp_ieee_invalid_op 0
		.amdhsa_exception_fp_denorm_src 0
		.amdhsa_exception_fp_ieee_div_zero 0
		.amdhsa_exception_fp_ieee_overflow 0
		.amdhsa_exception_fp_ieee_underflow 0
		.amdhsa_exception_fp_ieee_inexact 0
		.amdhsa_exception_int_div_zero 0
	.end_amdhsa_kernel
	.text
.Lfunc_end0:
	.size	fft_rtc_back_len1666_factors_17_2_7_7_wgs_119_tpt_119_halfLds_dp_op_CI_CI_unitstride_sbrr_C2R_dirReg, .Lfunc_end0-fft_rtc_back_len1666_factors_17_2_7_7_wgs_119_tpt_119_halfLds_dp_op_CI_CI_unitstride_sbrr_C2R_dirReg
                                        ; -- End function
	.section	.AMDGPU.csdata,"",@progbits
; Kernel info:
; codeLenInByte = 16184
; NumSgprs: 56
; NumVgprs: 165
; ScratchSize: 0
; MemoryBound: 0
; FloatMode: 240
; IeeeMode: 1
; LDSByteSize: 0 bytes/workgroup (compile time only)
; SGPRBlocks: 6
; VGPRBlocks: 20
; NumSGPRsForWavesPerEU: 56
; NumVGPRsForWavesPerEU: 165
; Occupancy: 5
; WaveLimiterHint : 1
; COMPUTE_PGM_RSRC2:SCRATCH_EN: 0
; COMPUTE_PGM_RSRC2:USER_SGPR: 6
; COMPUTE_PGM_RSRC2:TRAP_HANDLER: 0
; COMPUTE_PGM_RSRC2:TGID_X_EN: 1
; COMPUTE_PGM_RSRC2:TGID_Y_EN: 0
; COMPUTE_PGM_RSRC2:TGID_Z_EN: 0
; COMPUTE_PGM_RSRC2:TIDIG_COMP_CNT: 0
	.text
	.p2alignl 6, 3214868480
	.fill 48, 4, 3214868480
	.type	__hip_cuid_4d406a3c71e8a0a7,@object ; @__hip_cuid_4d406a3c71e8a0a7
	.section	.bss,"aw",@nobits
	.globl	__hip_cuid_4d406a3c71e8a0a7
__hip_cuid_4d406a3c71e8a0a7:
	.byte	0                               ; 0x0
	.size	__hip_cuid_4d406a3c71e8a0a7, 1

	.ident	"AMD clang version 19.0.0git (https://github.com/RadeonOpenCompute/llvm-project roc-6.4.0 25133 c7fe45cf4b819c5991fe208aaa96edf142730f1d)"
	.section	".note.GNU-stack","",@progbits
	.addrsig
	.addrsig_sym __hip_cuid_4d406a3c71e8a0a7
	.amdgpu_metadata
---
amdhsa.kernels:
  - .args:
      - .actual_access:  read_only
        .address_space:  global
        .offset:         0
        .size:           8
        .value_kind:     global_buffer
      - .offset:         8
        .size:           8
        .value_kind:     by_value
      - .actual_access:  read_only
        .address_space:  global
        .offset:         16
        .size:           8
        .value_kind:     global_buffer
      - .actual_access:  read_only
        .address_space:  global
        .offset:         24
        .size:           8
        .value_kind:     global_buffer
      - .actual_access:  read_only
        .address_space:  global
        .offset:         32
        .size:           8
        .value_kind:     global_buffer
      - .offset:         40
        .size:           8
        .value_kind:     by_value
      - .actual_access:  read_only
        .address_space:  global
        .offset:         48
        .size:           8
        .value_kind:     global_buffer
      - .actual_access:  read_only
        .address_space:  global
        .offset:         56
        .size:           8
        .value_kind:     global_buffer
      - .offset:         64
        .size:           4
        .value_kind:     by_value
      - .actual_access:  read_only
        .address_space:  global
        .offset:         72
        .size:           8
        .value_kind:     global_buffer
      - .actual_access:  read_only
        .address_space:  global
        .offset:         80
        .size:           8
        .value_kind:     global_buffer
      - .actual_access:  read_only
        .address_space:  global
        .offset:         88
        .size:           8
        .value_kind:     global_buffer
      - .actual_access:  write_only
        .address_space:  global
        .offset:         96
        .size:           8
        .value_kind:     global_buffer
    .group_segment_fixed_size: 0
    .kernarg_segment_align: 8
    .kernarg_segment_size: 104
    .language:       OpenCL C
    .language_version:
      - 2
      - 0
    .max_flat_workgroup_size: 119
    .name:           fft_rtc_back_len1666_factors_17_2_7_7_wgs_119_tpt_119_halfLds_dp_op_CI_CI_unitstride_sbrr_C2R_dirReg
    .private_segment_fixed_size: 0
    .sgpr_count:     56
    .sgpr_spill_count: 0
    .symbol:         fft_rtc_back_len1666_factors_17_2_7_7_wgs_119_tpt_119_halfLds_dp_op_CI_CI_unitstride_sbrr_C2R_dirReg.kd
    .uniform_work_group_size: 1
    .uses_dynamic_stack: false
    .vgpr_count:     165
    .vgpr_spill_count: 0
    .wavefront_size: 32
    .workgroup_processor_mode: 1
amdhsa.target:   amdgcn-amd-amdhsa--gfx1030
amdhsa.version:
  - 1
  - 2
...

	.end_amdgpu_metadata
